;; amdgpu-corpus repo=ROCm/rocFFT kind=compiled arch=gfx906 opt=O3
	.text
	.amdgcn_target "amdgcn-amd-amdhsa--gfx906"
	.amdhsa_code_object_version 6
	.protected	fft_rtc_fwd_len1188_factors_6_11_2_3_3_wgs_198_tpt_66_halfLds_dp_ip_CI_unitstride_sbrr_R2C_dirReg ; -- Begin function fft_rtc_fwd_len1188_factors_6_11_2_3_3_wgs_198_tpt_66_halfLds_dp_ip_CI_unitstride_sbrr_R2C_dirReg
	.globl	fft_rtc_fwd_len1188_factors_6_11_2_3_3_wgs_198_tpt_66_halfLds_dp_ip_CI_unitstride_sbrr_R2C_dirReg
	.p2align	8
	.type	fft_rtc_fwd_len1188_factors_6_11_2_3_3_wgs_198_tpt_66_halfLds_dp_ip_CI_unitstride_sbrr_R2C_dirReg,@function
fft_rtc_fwd_len1188_factors_6_11_2_3_3_wgs_198_tpt_66_halfLds_dp_ip_CI_unitstride_sbrr_R2C_dirReg: ; @fft_rtc_fwd_len1188_factors_6_11_2_3_3_wgs_198_tpt_66_halfLds_dp_ip_CI_unitstride_sbrr_R2C_dirReg
; %bb.0:
	s_load_dwordx2 s[2:3], s[4:5], 0x50
	s_load_dwordx4 s[8:11], s[4:5], 0x0
	s_load_dwordx2 s[12:13], s[4:5], 0x18
	v_mul_u32_u24_e32 v1, 0x3e1, v0
	v_lshrrev_b32_e32 v1, 16, v1
	v_mad_u64_u32 v[1:2], s[0:1], s6, 3, v[1:2]
	v_mov_b32_e32 v5, 0
	s_waitcnt lgkmcnt(0)
	v_cmp_lt_u64_e64 s[0:1], s[10:11], 2
	v_mov_b32_e32 v2, v5
	v_mov_b32_e32 v3, 0
	;; [unrolled: 1-line block ×3, first 2 shown]
	s_and_b64 vcc, exec, s[0:1]
	v_mov_b32_e32 v4, 0
	v_mov_b32_e32 v9, v1
	s_cbranch_vccnz .LBB0_8
; %bb.1:
	s_load_dwordx2 s[0:1], s[4:5], 0x10
	s_add_u32 s6, s12, 8
	s_addc_u32 s7, s13, 0
	v_mov_b32_e32 v3, 0
	v_mov_b32_e32 v8, v2
	s_waitcnt lgkmcnt(0)
	s_add_u32 s16, s0, 8
	s_mov_b64 s[14:15], 1
	v_mov_b32_e32 v4, 0
	s_addc_u32 s17, s1, 0
	v_mov_b32_e32 v7, v1
.LBB0_2:                                ; =>This Inner Loop Header: Depth=1
	s_load_dwordx2 s[18:19], s[16:17], 0x0
                                        ; implicit-def: $vgpr9_vgpr10
	s_waitcnt lgkmcnt(0)
	v_or_b32_e32 v6, s19, v8
	v_cmp_ne_u64_e32 vcc, 0, v[5:6]
	s_and_saveexec_b64 s[0:1], vcc
	s_xor_b64 s[20:21], exec, s[0:1]
	s_cbranch_execz .LBB0_4
; %bb.3:                                ;   in Loop: Header=BB0_2 Depth=1
	v_cvt_f32_u32_e32 v2, s18
	v_cvt_f32_u32_e32 v6, s19
	s_sub_u32 s0, 0, s18
	s_subb_u32 s1, 0, s19
	v_mac_f32_e32 v2, 0x4f800000, v6
	v_rcp_f32_e32 v2, v2
	v_mul_f32_e32 v2, 0x5f7ffffc, v2
	v_mul_f32_e32 v6, 0x2f800000, v2
	v_trunc_f32_e32 v6, v6
	v_mac_f32_e32 v2, 0xcf800000, v6
	v_cvt_u32_f32_e32 v6, v6
	v_cvt_u32_f32_e32 v2, v2
	v_mul_lo_u32 v9, s0, v6
	v_mul_hi_u32 v10, s0, v2
	v_mul_lo_u32 v12, s1, v2
	v_mul_lo_u32 v11, s0, v2
	v_add_u32_e32 v9, v10, v9
	v_add_u32_e32 v9, v9, v12
	v_mul_hi_u32 v10, v2, v11
	v_mul_lo_u32 v12, v2, v9
	v_mul_hi_u32 v14, v2, v9
	v_mul_hi_u32 v13, v6, v11
	v_mul_lo_u32 v11, v6, v11
	v_mul_hi_u32 v15, v6, v9
	v_add_co_u32_e32 v10, vcc, v10, v12
	v_addc_co_u32_e32 v12, vcc, 0, v14, vcc
	v_mul_lo_u32 v9, v6, v9
	v_add_co_u32_e32 v10, vcc, v10, v11
	v_addc_co_u32_e32 v10, vcc, v12, v13, vcc
	v_addc_co_u32_e32 v11, vcc, 0, v15, vcc
	v_add_co_u32_e32 v9, vcc, v10, v9
	v_addc_co_u32_e32 v10, vcc, 0, v11, vcc
	v_add_co_u32_e32 v2, vcc, v2, v9
	v_addc_co_u32_e32 v6, vcc, v6, v10, vcc
	v_mul_lo_u32 v9, s0, v6
	v_mul_hi_u32 v10, s0, v2
	v_mul_lo_u32 v11, s1, v2
	v_mul_lo_u32 v12, s0, v2
	v_add_u32_e32 v9, v10, v9
	v_add_u32_e32 v9, v9, v11
	v_mul_lo_u32 v13, v2, v9
	v_mul_hi_u32 v14, v2, v12
	v_mul_hi_u32 v15, v2, v9
	;; [unrolled: 1-line block ×3, first 2 shown]
	v_mul_lo_u32 v12, v6, v12
	v_mul_hi_u32 v10, v6, v9
	v_add_co_u32_e32 v13, vcc, v14, v13
	v_addc_co_u32_e32 v14, vcc, 0, v15, vcc
	v_mul_lo_u32 v9, v6, v9
	v_add_co_u32_e32 v12, vcc, v13, v12
	v_addc_co_u32_e32 v11, vcc, v14, v11, vcc
	v_addc_co_u32_e32 v10, vcc, 0, v10, vcc
	v_add_co_u32_e32 v9, vcc, v11, v9
	v_addc_co_u32_e32 v10, vcc, 0, v10, vcc
	v_add_co_u32_e32 v2, vcc, v2, v9
	v_addc_co_u32_e32 v6, vcc, v6, v10, vcc
	v_mad_u64_u32 v[9:10], s[0:1], v7, v6, 0
	v_mul_hi_u32 v11, v7, v2
	v_add_co_u32_e32 v13, vcc, v11, v9
	v_addc_co_u32_e32 v14, vcc, 0, v10, vcc
	v_mad_u64_u32 v[9:10], s[0:1], v8, v2, 0
	v_mad_u64_u32 v[11:12], s[0:1], v8, v6, 0
	v_add_co_u32_e32 v2, vcc, v13, v9
	v_addc_co_u32_e32 v2, vcc, v14, v10, vcc
	v_addc_co_u32_e32 v6, vcc, 0, v12, vcc
	v_add_co_u32_e32 v2, vcc, v2, v11
	v_addc_co_u32_e32 v6, vcc, 0, v6, vcc
	v_mul_lo_u32 v11, s19, v2
	v_mul_lo_u32 v12, s18, v6
	v_mad_u64_u32 v[9:10], s[0:1], s18, v2, 0
	v_add3_u32 v10, v10, v12, v11
	v_sub_u32_e32 v11, v8, v10
	v_mov_b32_e32 v12, s19
	v_sub_co_u32_e32 v9, vcc, v7, v9
	v_subb_co_u32_e64 v11, s[0:1], v11, v12, vcc
	v_subrev_co_u32_e64 v12, s[0:1], s18, v9
	v_subbrev_co_u32_e64 v11, s[0:1], 0, v11, s[0:1]
	v_cmp_le_u32_e64 s[0:1], s19, v11
	v_cndmask_b32_e64 v13, 0, -1, s[0:1]
	v_cmp_le_u32_e64 s[0:1], s18, v12
	v_cndmask_b32_e64 v12, 0, -1, s[0:1]
	v_cmp_eq_u32_e64 s[0:1], s19, v11
	v_cndmask_b32_e64 v11, v13, v12, s[0:1]
	v_add_co_u32_e64 v12, s[0:1], 2, v2
	v_addc_co_u32_e64 v13, s[0:1], 0, v6, s[0:1]
	v_add_co_u32_e64 v14, s[0:1], 1, v2
	v_addc_co_u32_e64 v15, s[0:1], 0, v6, s[0:1]
	v_subb_co_u32_e32 v10, vcc, v8, v10, vcc
	v_cmp_ne_u32_e64 s[0:1], 0, v11
	v_cmp_le_u32_e32 vcc, s19, v10
	v_cndmask_b32_e64 v11, v15, v13, s[0:1]
	v_cndmask_b32_e64 v13, 0, -1, vcc
	v_cmp_le_u32_e32 vcc, s18, v9
	v_cndmask_b32_e64 v9, 0, -1, vcc
	v_cmp_eq_u32_e32 vcc, s19, v10
	v_cndmask_b32_e32 v9, v13, v9, vcc
	v_cmp_ne_u32_e32 vcc, 0, v9
	v_cndmask_b32_e32 v10, v6, v11, vcc
	v_cndmask_b32_e64 v6, v14, v12, s[0:1]
	v_cndmask_b32_e32 v9, v2, v6, vcc
.LBB0_4:                                ;   in Loop: Header=BB0_2 Depth=1
	s_andn2_saveexec_b64 s[0:1], s[20:21]
	s_cbranch_execz .LBB0_6
; %bb.5:                                ;   in Loop: Header=BB0_2 Depth=1
	v_cvt_f32_u32_e32 v2, s18
	s_sub_i32 s20, 0, s18
	v_rcp_iflag_f32_e32 v2, v2
	v_mul_f32_e32 v2, 0x4f7ffffe, v2
	v_cvt_u32_f32_e32 v2, v2
	v_mul_lo_u32 v6, s20, v2
	v_mul_hi_u32 v6, v2, v6
	v_add_u32_e32 v2, v2, v6
	v_mul_hi_u32 v2, v7, v2
	v_mul_lo_u32 v6, v2, s18
	v_add_u32_e32 v9, 1, v2
	v_sub_u32_e32 v6, v7, v6
	v_subrev_u32_e32 v10, s18, v6
	v_cmp_le_u32_e32 vcc, s18, v6
	v_cndmask_b32_e32 v6, v6, v10, vcc
	v_cndmask_b32_e32 v2, v2, v9, vcc
	v_add_u32_e32 v9, 1, v2
	v_cmp_le_u32_e32 vcc, s18, v6
	v_cndmask_b32_e32 v9, v2, v9, vcc
	v_mov_b32_e32 v10, v5
.LBB0_6:                                ;   in Loop: Header=BB0_2 Depth=1
	s_or_b64 exec, exec, s[0:1]
	v_mul_lo_u32 v2, v10, s18
	v_mul_lo_u32 v6, v9, s19
	v_mad_u64_u32 v[11:12], s[0:1], v9, s18, 0
	s_load_dwordx2 s[0:1], s[6:7], 0x0
	s_add_u32 s14, s14, 1
	v_add3_u32 v2, v12, v6, v2
	v_sub_co_u32_e32 v6, vcc, v7, v11
	v_subb_co_u32_e32 v2, vcc, v8, v2, vcc
	s_waitcnt lgkmcnt(0)
	v_mul_lo_u32 v2, s0, v2
	v_mul_lo_u32 v7, s1, v6
	v_mad_u64_u32 v[3:4], s[0:1], s0, v6, v[3:4]
	s_addc_u32 s15, s15, 0
	s_add_u32 s6, s6, 8
	v_add3_u32 v4, v7, v4, v2
	v_mov_b32_e32 v6, s10
	v_mov_b32_e32 v7, s11
	s_addc_u32 s7, s7, 0
	v_cmp_ge_u64_e32 vcc, s[14:15], v[6:7]
	s_add_u32 s16, s16, 8
	s_addc_u32 s17, s17, 0
	s_cbranch_vccnz .LBB0_8
; %bb.7:                                ;   in Loop: Header=BB0_2 Depth=1
	v_mov_b32_e32 v7, v9
	v_mov_b32_e32 v8, v10
	s_branch .LBB0_2
.LBB0_8:
	s_lshl_b64 s[0:1], s[10:11], 3
	s_add_u32 s0, s12, s0
	s_addc_u32 s1, s13, s1
	s_load_dwordx2 s[0:1], s[0:1], 0x0
	s_mov_b32 s6, 0xaaaaaaab
	v_mul_hi_u32 v5, v1, s6
	s_load_dwordx2 s[4:5], s[4:5], 0x20
                                        ; implicit-def: $vgpr94
                                        ; implicit-def: $vgpr92
	s_waitcnt lgkmcnt(0)
	v_mul_lo_u32 v6, s0, v10
	v_mul_lo_u32 v7, s1, v9
	v_mad_u64_u32 v[2:3], s[0:1], s0, v9, v[3:4]
	s_mov_b32 s0, 0x3e0f83f
	v_lshrrev_b32_e32 v4, 1, v5
	v_mul_hi_u32 v5, v0, s0
	v_lshl_add_u32 v4, v4, 1, v4
	v_sub_u32_e32 v1, v1, v4
	v_cmp_gt_u64_e64 s[0:1], s[4:5], v[9:10]
	v_cmp_le_u64_e32 vcc, s[4:5], v[9:10]
	v_mul_u32_u24_e32 v4, 0x42, v5
	v_add3_u32 v3, v7, v3, v6
	v_sub_u32_e32 v88, v0, v4
	s_and_saveexec_b64 s[4:5], vcc
	s_xor_b64 s[4:5], exec, s[4:5]
; %bb.9:
	v_add_u32_e32 v94, 0x42, v88
	v_add_u32_e32 v92, 0x84, v88
; %bb.10:
	s_or_saveexec_b64 s[4:5], s[4:5]
	v_mul_u32_u24_e32 v0, 0x4a5, v1
	v_lshlrev_b64 v[90:91], 4, v[2:3]
	v_lshlrev_b32_e32 v98, 4, v0
	v_lshlrev_b32_e32 v93, 4, v88
	s_xor_b64 exec, exec, s[4:5]
	s_cbranch_execz .LBB0_12
; %bb.11:
	v_mov_b32_e32 v89, 0
	v_mov_b32_e32 v0, s3
	v_add_co_u32_e32 v2, vcc, s2, v90
	v_addc_co_u32_e32 v3, vcc, v0, v91, vcc
	v_lshlrev_b64 v[0:1], 4, v[88:89]
	s_movk_i32 s6, 0x1000
	v_add_co_u32_e32 v63, vcc, v2, v0
	v_addc_co_u32_e32 v64, vcc, v3, v1, vcc
	v_add_co_u32_e32 v32, vcc, s6, v63
	v_addc_co_u32_e32 v33, vcc, 0, v64, vcc
	s_movk_i32 s6, 0x2000
	v_add_co_u32_e32 v48, vcc, s6, v63
	v_addc_co_u32_e32 v49, vcc, 0, v64, vcc
	s_movk_i32 s6, 0x3000
	v_add_co_u32_e32 v65, vcc, s6, v63
	v_addc_co_u32_e32 v66, vcc, 0, v64, vcc
	v_add_co_u32_e32 v72, vcc, 0x4000, v63
	v_addc_co_u32_e32 v73, vcc, 0, v64, vcc
	global_load_dwordx4 v[0:3], v[63:64], off
	global_load_dwordx4 v[4:7], v[63:64], off offset:1056
	global_load_dwordx4 v[8:11], v[63:64], off offset:2112
	;; [unrolled: 1-line block ×7, first 2 shown]
	s_nop 0
	global_load_dwordx4 v[32:35], v[48:49], off offset:256
	global_load_dwordx4 v[36:39], v[48:49], off offset:1312
	;; [unrolled: 1-line block ×4, first 2 shown]
	s_nop 0
	global_load_dwordx4 v[48:51], v[65:66], off offset:384
	global_load_dwordx4 v[52:55], v[65:66], off offset:1440
	;; [unrolled: 1-line block ×4, first 2 shown]
	s_nop 0
	global_load_dwordx4 v[64:67], v[72:73], off offset:512
	global_load_dwordx4 v[68:71], v[72:73], off offset:1568
	v_add3_u32 v72, 0, v98, v93
	v_add_u32_e32 v94, 0x42, v88
	v_add_u32_e32 v92, 0x84, v88
	s_waitcnt vmcnt(17)
	ds_write_b128 v72, v[0:3]
	s_waitcnt vmcnt(16)
	ds_write_b128 v72, v[4:7] offset:1056
	s_waitcnt vmcnt(15)
	ds_write_b128 v72, v[8:11] offset:2112
	s_waitcnt vmcnt(14)
	ds_write_b128 v72, v[12:15] offset:3168
	s_waitcnt vmcnt(13)
	ds_write_b128 v72, v[16:19] offset:4224
	s_waitcnt vmcnt(12)
	ds_write_b128 v72, v[20:23] offset:5280
	s_waitcnt vmcnt(11)
	ds_write_b128 v72, v[24:27] offset:6336
	s_waitcnt vmcnt(10)
	ds_write_b128 v72, v[28:31] offset:7392
	s_waitcnt vmcnt(9)
	ds_write_b128 v72, v[32:35] offset:8448
	s_waitcnt vmcnt(8)
	ds_write_b128 v72, v[36:39] offset:9504
	s_waitcnt vmcnt(7)
	ds_write_b128 v72, v[40:43] offset:10560
	s_waitcnt vmcnt(6)
	ds_write_b128 v72, v[44:47] offset:11616
	s_waitcnt vmcnt(5)
	ds_write_b128 v72, v[48:51] offset:12672
	s_waitcnt vmcnt(4)
	ds_write_b128 v72, v[52:55] offset:13728
	s_waitcnt vmcnt(3)
	ds_write_b128 v72, v[56:59] offset:14784
	s_waitcnt vmcnt(2)
	ds_write_b128 v72, v[60:63] offset:15840
	s_waitcnt vmcnt(1)
	ds_write_b128 v72, v[64:67] offset:16896
	s_waitcnt vmcnt(0)
	ds_write_b128 v72, v[68:71] offset:17952
.LBB0_12:
	s_or_b64 exec, exec, s[4:5]
	v_add_u32_e32 v0, 0, v93
	v_add_u32_e32 v97, 0, v98
	;; [unrolled: 1-line block ×3, first 2 shown]
	s_waitcnt lgkmcnt(0)
	s_barrier
	v_add_u32_e32 v96, v97, v93
	ds_read_b128 v[4:7], v95 offset:6336
	ds_read_b128 v[8:11], v96
	ds_read_b128 v[0:3], v95 offset:1056
	ds_read_b128 v[12:15], v95 offset:7392
	;; [unrolled: 1-line block ×9, first 2 shown]
	s_waitcnt lgkmcnt(9)
	v_add_f64 v[44:45], v[8:9], v[4:5]
	v_add_f64 v[46:47], v[10:11], v[6:7]
	s_waitcnt lgkmcnt(3)
	v_add_f64 v[52:53], v[30:31], v[26:27]
	v_add_f64 v[54:55], v[28:29], v[24:25]
	v_add_f64 v[48:49], v[4:5], v[16:17]
	v_add_f64 v[50:51], v[6:7], -v[18:19]
	v_add_f64 v[56:57], v[6:7], v[18:19]
	v_add_f64 v[58:59], v[4:5], -v[16:17]
	ds_read_b128 v[4:7], v95 offset:2112
	v_add_f64 v[60:61], v[30:31], -v[26:27]
	v_add_f64 v[62:63], v[28:29], -v[24:25]
	s_waitcnt lgkmcnt(1)
	v_fma_f64 v[52:53], v[52:53], -0.5, v[42:43]
	v_fma_f64 v[54:55], v[54:55], -0.5, v[40:41]
	v_add_f64 v[28:29], v[40:41], v[28:29]
	v_add_f64 v[30:31], v[42:43], v[30:31]
	s_mov_b32 s4, 0xe8584caa
	s_mov_b32 s5, 0x3febb67a
	;; [unrolled: 1-line block ×4, first 2 shown]
	v_fma_f64 v[40:41], v[62:63], s[6:7], v[52:53]
	v_fma_f64 v[42:43], v[60:61], s[4:5], v[54:55]
	v_add_f64 v[24:25], v[28:29], v[24:25]
	v_add_f64 v[26:27], v[30:31], v[26:27]
	v_fma_f64 v[28:29], v[60:61], s[6:7], v[54:55]
	v_fma_f64 v[30:31], v[62:63], s[4:5], v[52:53]
	v_add_f64 v[16:17], v[44:45], v[16:17]
	v_add_f64 v[18:19], v[46:47], v[18:19]
	v_mul_f64 v[44:45], v[40:41], s[4:5]
	v_mul_f64 v[46:47], v[42:43], s[6:7]
	v_fma_f64 v[48:49], v[48:49], -0.5, v[8:9]
	v_fma_f64 v[52:53], v[56:57], -0.5, v[10:11]
	v_mul_f64 v[54:55], v[28:29], -0.5
	v_mul_f64 v[56:57], v[30:31], -0.5
	v_add_f64 v[8:9], v[16:17], v[24:25]
	v_add_f64 v[10:11], v[18:19], v[26:27]
	v_fma_f64 v[42:43], v[42:43], 0.5, v[44:45]
	v_fma_f64 v[40:41], v[40:41], 0.5, v[46:47]
	v_fma_f64 v[44:45], v[50:51], s[4:5], v[48:49]
	v_fma_f64 v[46:47], v[58:59], s[6:7], v[52:53]
	;; [unrolled: 1-line block ×6, first 2 shown]
	v_add_f64 v[16:17], v[16:17], -v[24:25]
	v_add_f64 v[18:19], v[18:19], -v[26:27]
	v_add_f64 v[24:25], v[44:45], v[42:43]
	v_add_f64 v[26:27], v[46:47], v[40:41]
	v_add_f64 v[28:29], v[44:45], -v[42:43]
	v_add_f64 v[30:31], v[46:47], -v[40:41]
	v_add_f64 v[40:41], v[48:49], v[52:53]
	v_add_f64 v[42:43], v[50:51], v[54:55]
	v_add_f64 v[44:45], v[48:49], -v[52:53]
	v_add_f64 v[46:47], v[50:51], -v[54:55]
	ds_read_b128 v[48:51], v95 offset:4224
	ds_read_b128 v[52:55], v95 offset:5280
	;; [unrolled: 1-line block ×6, first 2 shown]
	v_mul_u32_u24_e32 v72, 6, v88
	v_lshl_add_u32 v72, v72, 4, v97
	s_waitcnt lgkmcnt(0)
	s_barrier
	ds_write_b128 v72, v[8:11]
	ds_write_b128 v72, v[24:27] offset:16
	ds_write_b128 v72, v[40:43] offset:32
	;; [unrolled: 1-line block ×3, first 2 shown]
	v_add_f64 v[10:11], v[56:57], v[64:65]
	v_add_f64 v[8:9], v[58:59], v[66:67]
	v_add_f64 v[24:25], v[58:59], -v[66:67]
	ds_write_b128 v72, v[28:31] offset:64
	ds_write_b128 v72, v[44:47] offset:80
	v_add_f64 v[18:19], v[2:3], v[14:15]
	v_add_f64 v[26:27], v[56:57], -v[64:65]
	v_add_f64 v[40:41], v[14:15], -v[22:23]
	v_add_f64 v[14:15], v[14:15], v[22:23]
	v_fma_f64 v[10:11], v[10:11], -0.5, v[48:49]
	v_fma_f64 v[8:9], v[8:9], -0.5, v[50:51]
	v_add_f64 v[16:17], v[0:1], v[12:13]
	v_add_f64 v[28:29], v[12:13], v[20:21]
	;; [unrolled: 1-line block ×4, first 2 shown]
	v_add_f64 v[12:13], v[12:13], -v[20:21]
	v_fma_f64 v[2:3], v[14:15], -0.5, v[2:3]
	v_fma_f64 v[46:47], v[24:25], s[4:5], v[10:11]
	v_fma_f64 v[10:11], v[24:25], s[6:7], v[10:11]
	;; [unrolled: 1-line block ×4, first 2 shown]
	v_add_f64 v[16:17], v[16:17], v[20:21]
	v_add_f64 v[18:19], v[18:19], v[22:23]
	;; [unrolled: 1-line block ×4, first 2 shown]
	v_mul_f64 v[26:27], v[46:47], s[6:7]
	v_mul_f64 v[14:15], v[10:11], -0.5
	v_mul_f64 v[24:25], v[44:45], s[4:5]
	v_fma_f64 v[0:1], v[28:29], -0.5, v[0:1]
	v_mul_f64 v[42:43], v[8:9], -0.5
	v_fma_f64 v[50:51], v[12:13], s[6:7], v[2:3]
	v_fma_f64 v[2:3], v[12:13], s[4:5], v[2:3]
	v_add_f64 v[12:13], v[62:63], v[70:71]
	v_add_f64 v[28:29], v[16:17], v[20:21]
	v_fma_f64 v[8:9], v[8:9], s[4:5], v[14:15]
	v_add_f64 v[14:15], v[60:61], v[68:69]
	v_add_f64 v[30:31], v[18:19], v[22:23]
	v_fma_f64 v[24:25], v[46:47], 0.5, v[24:25]
	v_fma_f64 v[26:27], v[44:45], 0.5, v[26:27]
	v_fma_f64 v[48:49], v[40:41], s[4:5], v[0:1]
	v_fma_f64 v[0:1], v[40:41], s[6:7], v[0:1]
	;; [unrolled: 1-line block ×3, first 2 shown]
	v_add_f64 v[40:41], v[16:17], -v[20:21]
	v_add_f64 v[42:43], v[18:19], -v[22:23]
	;; [unrolled: 1-line block ×4, first 2 shown]
	v_fma_f64 v[12:13], v[12:13], -0.5, v[54:55]
	v_fma_f64 v[14:15], v[14:15], -0.5, v[52:53]
	v_add_f64 v[44:45], v[48:49], v[24:25]
	v_add_f64 v[46:47], v[50:51], v[26:27]
	v_add_f64 v[48:49], v[48:49], -v[24:25]
	v_add_f64 v[50:51], v[50:51], -v[26:27]
	v_add_f64 v[58:59], v[2:3], v[10:11]
	v_add_f64 v[2:3], v[2:3], -v[10:11]
	v_add_f64 v[10:11], v[6:7], v[34:35]
	v_add_f64 v[20:21], v[32:33], v[36:37]
	v_add_f64 v[22:23], v[34:35], -v[38:39]
	v_add_f64 v[24:25], v[52:53], v[60:61]
	v_add_f64 v[26:27], v[54:55], v[62:63]
	;; [unrolled: 1-line block ×3, first 2 shown]
	v_fma_f64 v[52:53], v[18:19], s[6:7], v[12:13]
	v_fma_f64 v[54:55], v[16:17], s[4:5], v[14:15]
	v_add_f64 v[56:57], v[0:1], v[8:9]
	v_add_f64 v[0:1], v[0:1], -v[8:9]
	v_add_f64 v[8:9], v[4:5], v[32:33]
	v_fma_f64 v[14:15], v[16:17], s[6:7], v[14:15]
	v_fma_f64 v[12:13], v[18:19], s[4:5], v[12:13]
	v_add_f64 v[32:33], v[32:33], -v[36:37]
	v_mul_f64 v[16:17], v[52:53], s[4:5]
	v_mul_f64 v[18:19], v[54:55], s[6:7]
	v_fma_f64 v[20:21], v[20:21], -0.5, v[4:5]
	v_fma_f64 v[34:35], v[34:35], -0.5, v[6:7]
	v_add_f64 v[8:9], v[8:9], v[36:37]
	v_add_f64 v[10:11], v[10:11], v[38:39]
	v_mul_f64 v[36:37], v[14:15], -0.5
	v_mul_f64 v[38:39], v[12:13], -0.5
	v_add_f64 v[24:25], v[24:25], v[68:69]
	v_add_f64 v[26:27], v[26:27], v[70:71]
	v_fma_f64 v[54:55], v[54:55], 0.5, v[16:17]
	v_fma_f64 v[52:53], v[52:53], 0.5, v[18:19]
	v_fma_f64 v[60:61], v[22:23], s[4:5], v[20:21]
	v_fma_f64 v[62:63], v[32:33], s[6:7], v[34:35]
	;; [unrolled: 1-line block ×6, first 2 shown]
	v_add_f64 v[4:5], v[8:9], v[24:25]
	v_add_f64 v[6:7], v[10:11], v[26:27]
	v_add_f64 v[16:17], v[8:9], -v[24:25]
	v_add_f64 v[18:19], v[10:11], -v[26:27]
	v_add_f64 v[8:9], v[60:61], v[54:55]
	v_add_f64 v[10:11], v[62:63], v[52:53]
	;; [unrolled: 1-line block ×4, first 2 shown]
	v_add_f64 v[20:21], v[60:61], -v[54:55]
	v_add_f64 v[22:23], v[62:63], -v[52:53]
	;; [unrolled: 1-line block ×3, first 2 shown]
	v_mul_i32_i24_e32 v32, 6, v94
	v_add_f64 v[24:25], v[64:65], -v[34:35]
	v_lshl_add_u32 v32, v32, 4, v97
	ds_write_b128 v32, v[28:31]
	ds_write_b128 v32, v[44:47] offset:16
	ds_write_b128 v32, v[56:59] offset:32
	;; [unrolled: 1-line block ×5, first 2 shown]
	v_mul_i32_i24_e32 v28, 6, v92
	v_lshl_add_u32 v28, v28, 4, v97
	ds_write_b128 v28, v[4:7]
	ds_write_b128 v28, v[8:11] offset:16
	ds_write_b128 v28, v[12:15] offset:32
	;; [unrolled: 1-line block ×5, first 2 shown]
	s_waitcnt lgkmcnt(0)
	s_barrier
	ds_read_b128 v[44:47], v96
	ds_read_b128 v[84:87], v95 offset:1728
	ds_read_b128 v[80:83], v95 offset:3456
	;; [unrolled: 1-line block ×10, first 2 shown]
	v_cmp_gt_u32_e32 vcc, 42, v88
	v_lshlrev_b32_e32 v99, 4, v94
                                        ; implicit-def: $vgpr42_vgpr43
                                        ; implicit-def: $vgpr38_vgpr39
                                        ; implicit-def: $vgpr34_vgpr35
                                        ; implicit-def: $vgpr30_vgpr31
	s_and_saveexec_b64 s[4:5], vcc
	s_cbranch_execz .LBB0_14
; %bb.13:
	v_add3_u32 v0, 0, v99, v98
	ds_read_b128 v[0:3], v0
	ds_read_b128 v[4:7], v95 offset:2784
	ds_read_b128 v[8:11], v95 offset:4512
	;; [unrolled: 1-line block ×10, first 2 shown]
.LBB0_14:
	s_or_b64 exec, exec, s[4:5]
	s_movk_i32 s33, 0xab
	v_mul_lo_u16_sdwa v89, v88, s33 dst_sel:DWORD dst_unused:UNUSED_PAD src0_sel:BYTE_0 src1_sel:DWORD
	v_lshrrev_b16_e32 v100, 10, v89
	v_mul_lo_u16_e32 v89, 6, v100
	v_sub_u16_e32 v101, v88, v89
	v_mov_b32_e32 v89, 10
	v_mul_u32_u24_sdwa v102, v101, v89 dst_sel:DWORD dst_unused:UNUSED_PAD src0_sel:BYTE_0 src1_sel:DWORD
	v_lshlrev_b32_e32 v138, 4, v102
	global_load_dwordx4 v[102:105], v138, s[8:9]
	global_load_dwordx4 v[106:109], v138, s[8:9] offset:16
	global_load_dwordx4 v[110:113], v138, s[8:9] offset:32
	;; [unrolled: 1-line block ×8, first 2 shown]
	s_nop 0
	global_load_dwordx4 v[138:141], v138, s[8:9] offset:144
	s_mov_b32 s4, 0xf8bb580b
	s_mov_b32 s10, 0x8eee2c13
	s_mov_b32 s14, 0x43842ef
	s_mov_b32 s18, 0xbb3a28a1
	s_mov_b32 s24, 0xfd768dbf
	s_mov_b32 s5, 0xbfe14ced
	s_mov_b32 s11, 0xbfed1bb4
	s_mov_b32 s15, 0xbfefac9e
	s_mov_b32 s19, 0xbfe82f19
	s_mov_b32 s25, 0xbfd207e7
	s_mov_b32 s6, 0x8764f0ba
	s_mov_b32 s12, 0xd9c712b6
	s_mov_b32 s16, 0x640f44db
	s_mov_b32 s20, 0x7f775887
	s_mov_b32 s22, 0x9bcd5057
	s_mov_b32 s7, 0x3feaeb8c
	s_mov_b32 s13, 0x3fda9628
	s_mov_b32 s17, 0xbfc2375f
	s_mov_b32 s21, 0xbfe4f49e
	s_mov_b32 s23, 0xbfeeb42a
	s_mov_b32 s27, 0x3fd207e7
	s_mov_b32 s26, s24
	s_mov_b32 s29, 0x3fefac9e
	s_mov_b32 s28, s14
	s_mov_b32 s31, 0x3fe14ced
	s_mov_b32 s30, s4
	s_mov_b32 s35, 0x3fed1bb4
	s_mov_b32 s34, s10
	s_movk_i32 s40, 0x420
	s_waitcnt vmcnt(0) lgkmcnt(0)
	s_barrier
	v_mul_f64 v[142:143], v[86:87], v[104:105]
	v_mul_f64 v[104:105], v[84:85], v[104:105]
	;; [unrolled: 1-line block ×10, first 2 shown]
	v_fma_f64 v[84:85], v[84:85], v[102:103], -v[142:143]
	v_fma_f64 v[86:87], v[86:87], v[102:103], v[104:105]
	v_fma_f64 v[80:81], v[80:81], v[106:107], -v[144:145]
	v_fma_f64 v[82:83], v[82:83], v[106:107], v[108:109]
	v_fma_f64 v[76:77], v[76:77], v[110:111], -v[146:147]
	v_fma_f64 v[78:79], v[78:79], v[110:111], v[112:113]
	v_fma_f64 v[48:49], v[48:49], v[134:135], -v[158:159]
	v_fma_f64 v[50:51], v[50:51], v[134:135], v[136:137]
	v_add_f64 v[102:103], v[44:45], v[84:85]
	v_add_f64 v[104:105], v[46:47], v[86:87]
	v_fma_f64 v[72:73], v[72:73], v[114:115], -v[148:149]
	v_fma_f64 v[74:75], v[74:75], v[114:115], v[116:117]
	v_mul_f64 v[150:151], v[70:71], v[120:121]
	v_mul_f64 v[120:121], v[68:69], v[120:121]
	v_add_f64 v[110:111], v[80:81], v[48:49]
	v_add_f64 v[112:113], v[82:83], v[50:51]
	v_add_f64 v[114:115], v[80:81], -v[48:49]
	v_add_f64 v[116:117], v[82:83], -v[50:51]
	v_add_f64 v[80:81], v[102:103], v[80:81]
	v_add_f64 v[82:83], v[104:105], v[82:83]
	v_mul_f64 v[152:153], v[62:63], v[124:125]
	v_mul_f64 v[124:125], v[60:61], v[124:125]
	;; [unrolled: 1-line block ×4, first 2 shown]
	v_fma_f64 v[68:69], v[68:69], v[118:119], -v[150:151]
	v_fma_f64 v[70:71], v[70:71], v[118:119], v[120:121]
	v_add_f64 v[80:81], v[80:81], v[76:77]
	v_add_f64 v[82:83], v[82:83], v[78:79]
	v_mul_f64 v[154:155], v[58:59], v[128:129]
	v_mul_f64 v[128:129], v[56:57], v[128:129]
	v_fma_f64 v[60:61], v[60:61], v[122:123], -v[152:153]
	v_fma_f64 v[62:63], v[62:63], v[122:123], v[124:125]
	v_fma_f64 v[64:65], v[64:65], v[138:139], -v[160:161]
	v_fma_f64 v[66:67], v[66:67], v[138:139], v[140:141]
	v_add_f64 v[80:81], v[80:81], v[72:73]
	v_add_f64 v[82:83], v[82:83], v[74:75]
	v_mul_f64 v[156:157], v[54:55], v[132:133]
	v_mul_f64 v[132:133], v[52:53], v[132:133]
	v_fma_f64 v[56:57], v[56:57], v[126:127], -v[154:155]
	v_fma_f64 v[58:59], v[58:59], v[126:127], v[128:129]
	v_add_f64 v[106:107], v[84:85], v[64:65]
	v_add_f64 v[108:109], v[86:87], v[66:67]
	;; [unrolled: 1-line block ×4, first 2 shown]
	v_add_f64 v[86:87], v[86:87], -v[66:67]
	v_add_f64 v[84:85], v[84:85], -v[64:65]
	v_fma_f64 v[52:53], v[52:53], v[130:131], -v[156:157]
	v_fma_f64 v[54:55], v[54:55], v[130:131], v[132:133]
	v_mul_f64 v[130:131], v[116:117], s[10:11]
	v_mul_f64 v[132:133], v[114:115], s[10:11]
	v_add_f64 v[80:81], v[80:81], v[60:61]
	v_add_f64 v[82:83], v[82:83], v[62:63]
	v_mul_f64 v[102:103], v[86:87], s[4:5]
	v_mul_f64 v[104:105], v[84:85], s[4:5]
	;; [unrolled: 1-line block ×10, first 2 shown]
	v_add_f64 v[80:81], v[80:81], v[56:57]
	v_add_f64 v[82:83], v[82:83], v[58:59]
	v_fma_f64 v[142:143], v[106:107], s[6:7], -v[102:103]
	v_fma_f64 v[144:145], v[108:109], s[6:7], v[104:105]
	v_fma_f64 v[102:103], v[106:107], s[6:7], v[102:103]
	v_fma_f64 v[104:105], v[108:109], s[6:7], -v[104:105]
	v_fma_f64 v[146:147], v[106:107], s[12:13], -v[118:119]
	v_fma_f64 v[148:149], v[108:109], s[12:13], v[120:121]
	v_fma_f64 v[118:119], v[106:107], s[12:13], v[118:119]
	v_fma_f64 v[120:121], v[108:109], s[12:13], -v[120:121]
	;; [unrolled: 4-line block ×5, first 2 shown]
	v_add_f64 v[80:81], v[80:81], v[52:53]
	v_add_f64 v[82:83], v[82:83], v[54:55]
	v_mul_f64 v[134:135], v[116:117], s[18:19]
	v_mul_f64 v[136:137], v[114:115], s[18:19]
	;; [unrolled: 1-line block ×4, first 2 shown]
	v_fma_f64 v[106:107], v[110:111], s[12:13], -v[130:131]
	v_fma_f64 v[108:109], v[112:113], s[12:13], v[132:133]
	v_add_f64 v[142:143], v[44:45], v[142:143]
	v_add_f64 v[144:145], v[46:47], v[144:145]
	;; [unrolled: 1-line block ×22, first 2 shown]
	v_fma_f64 v[130:131], v[110:111], s[12:13], v[130:131]
	v_fma_f64 v[132:133], v[112:113], s[12:13], -v[132:133]
	v_fma_f64 v[162:163], v[110:111], s[20:21], -v[134:135]
	v_fma_f64 v[164:165], v[112:113], s[20:21], v[136:137]
	v_add_f64 v[48:49], v[106:107], v[142:143]
	v_add_f64 v[50:51], v[108:109], v[144:145]
	;; [unrolled: 1-line block ×4, first 2 shown]
	v_mul_f64 v[64:65], v[116:117], s[28:29]
	v_mul_f64 v[66:67], v[114:115], s[28:29]
	v_fma_f64 v[106:107], v[110:111], s[20:21], v[134:135]
	v_fma_f64 v[108:109], v[112:113], s[20:21], -v[136:137]
	v_fma_f64 v[134:135], v[110:111], s[22:23], v[138:139]
	v_fma_f64 v[136:137], v[112:113], s[22:23], -v[140:141]
	v_add_f64 v[80:81], v[130:131], v[102:103]
	v_add_f64 v[82:83], v[132:133], v[104:105]
	v_fma_f64 v[130:131], v[110:111], s[22:23], -v[138:139]
	v_fma_f64 v[132:133], v[112:113], s[22:23], v[140:141]
	v_fma_f64 v[138:139], v[110:111], s[16:17], -v[64:65]
	v_fma_f64 v[140:141], v[112:113], s[16:17], v[66:67]
	v_add_f64 v[122:123], v[134:135], v[122:123]
	v_add_f64 v[124:125], v[136:137], v[124:125]
	v_add_f64 v[134:135], v[78:79], -v[54:55]
	v_add_f64 v[136:137], v[76:77], -v[52:53]
	v_mul_f64 v[116:117], v[116:117], s[30:31]
	v_mul_f64 v[114:115], v[114:115], s[30:31]
	v_add_f64 v[106:107], v[106:107], v[118:119]
	v_add_f64 v[108:109], v[108:109], v[120:121]
	;; [unrolled: 1-line block ×6, first 2 shown]
	v_fma_f64 v[64:65], v[110:111], s[16:17], v[64:65]
	v_fma_f64 v[66:67], v[112:113], s[16:17], -v[66:67]
	v_add_f64 v[52:53], v[76:77], v[52:53]
	v_add_f64 v[54:55], v[78:79], v[54:55]
	v_mul_f64 v[76:77], v[134:135], s[14:15]
	v_mul_f64 v[78:79], v[136:137], s[14:15]
	v_fma_f64 v[138:139], v[110:111], s[6:7], -v[116:117]
	v_fma_f64 v[140:141], v[112:113], s[6:7], v[114:115]
	v_add_f64 v[64:65], v[64:65], v[126:127]
	v_add_f64 v[66:67], v[66:67], v[128:129]
	v_fma_f64 v[110:111], v[110:111], s[6:7], v[116:117]
	v_fma_f64 v[112:113], v[112:113], s[6:7], -v[114:115]
	v_fma_f64 v[114:115], v[52:53], s[16:17], -v[76:77]
	v_fma_f64 v[116:117], v[54:55], s[16:17], v[78:79]
	v_add_f64 v[126:127], v[138:139], v[158:159]
	v_add_f64 v[128:129], v[140:141], v[160:161]
	v_mul_f64 v[138:139], v[134:135], s[26:27]
	v_mul_f64 v[140:141], v[136:137], s[26:27]
	v_add_f64 v[102:103], v[162:163], v[146:147]
	v_add_f64 v[104:105], v[164:165], v[148:149]
	;; [unrolled: 1-line block ×6, first 2 shown]
	v_fma_f64 v[76:77], v[52:53], s[16:17], v[76:77]
	v_fma_f64 v[78:79], v[54:55], s[16:17], -v[78:79]
	v_fma_f64 v[110:111], v[52:53], s[22:23], -v[138:139]
	v_fma_f64 v[112:113], v[54:55], s[22:23], v[140:141]
	v_mul_f64 v[114:115], v[134:135], s[34:35]
	v_mul_f64 v[116:117], v[136:137], s[34:35]
	v_add_f64 v[76:77], v[76:77], v[80:81]
	v_add_f64 v[78:79], v[78:79], v[82:83]
	;; [unrolled: 1-line block ×4, first 2 shown]
	v_fma_f64 v[102:103], v[52:53], s[22:23], v[138:139]
	v_fma_f64 v[104:105], v[54:55], s[22:23], -v[140:141]
	v_fma_f64 v[110:111], v[52:53], s[12:13], -v[114:115]
	v_fma_f64 v[112:113], v[54:55], s[12:13], v[116:117]
	v_mul_f64 v[138:139], v[134:135], s[4:5]
	v_mul_f64 v[140:141], v[136:137], s[4:5]
	v_fma_f64 v[114:115], v[52:53], s[12:13], v[114:115]
	v_fma_f64 v[116:117], v[54:55], s[12:13], -v[116:117]
	v_add_f64 v[102:103], v[102:103], v[106:107]
	v_add_f64 v[104:105], v[104:105], v[108:109]
	;; [unrolled: 1-line block ×4, first 2 shown]
	v_fma_f64 v[110:111], v[52:53], s[6:7], -v[138:139]
	v_fma_f64 v[112:113], v[54:55], s[6:7], v[140:141]
	v_mul_f64 v[118:119], v[134:135], s[18:19]
	v_mul_f64 v[120:121], v[136:137], s[18:19]
	v_add_f64 v[114:115], v[114:115], v[122:123]
	v_add_f64 v[116:117], v[116:117], v[124:125]
	v_fma_f64 v[122:123], v[52:53], s[6:7], v[138:139]
	v_fma_f64 v[124:125], v[54:55], s[6:7], -v[140:141]
	v_add_f64 v[110:111], v[110:111], v[130:131]
	v_add_f64 v[112:113], v[112:113], v[132:133]
	v_add_f64 v[130:131], v[74:75], -v[58:59]
	v_add_f64 v[132:133], v[72:73], -v[56:57]
	v_fma_f64 v[134:135], v[52:53], s[20:21], -v[118:119]
	v_fma_f64 v[136:137], v[54:55], s[20:21], v[120:121]
	v_add_f64 v[56:57], v[72:73], v[56:57]
	v_add_f64 v[58:59], v[74:75], v[58:59]
	;; [unrolled: 1-line block ×4, first 2 shown]
	v_mul_f64 v[72:73], v[130:131], s[18:19]
	v_mul_f64 v[74:75], v[132:133], s[18:19]
	v_add_f64 v[122:123], v[134:135], v[126:127]
	v_add_f64 v[124:125], v[136:137], v[128:129]
	v_fma_f64 v[52:53], v[52:53], s[20:21], v[118:119]
	v_fma_f64 v[54:55], v[54:55], s[20:21], -v[120:121]
	v_mul_f64 v[118:119], v[130:131], s[28:29]
	v_mul_f64 v[120:121], v[132:133], s[28:29]
	v_fma_f64 v[126:127], v[56:57], s[20:21], -v[72:73]
	v_fma_f64 v[128:129], v[58:59], s[20:21], v[74:75]
	v_fma_f64 v[72:73], v[56:57], s[20:21], v[72:73]
	v_fma_f64 v[74:75], v[58:59], s[20:21], -v[74:75]
	v_add_f64 v[52:53], v[52:53], v[86:87]
	v_add_f64 v[54:55], v[54:55], v[84:85]
	v_fma_f64 v[84:85], v[56:57], s[16:17], -v[118:119]
	v_fma_f64 v[86:87], v[58:59], s[16:17], v[120:121]
	v_add_f64 v[48:49], v[126:127], v[48:49]
	v_add_f64 v[126:127], v[128:129], v[50:51]
	;; [unrolled: 1-line block ×3, first 2 shown]
	v_mul_f64 v[50:51], v[130:131], s[4:5]
	v_mul_f64 v[76:77], v[132:133], s[4:5]
	v_add_f64 v[74:75], v[74:75], v[78:79]
	v_add_f64 v[78:79], v[84:85], v[80:81]
	;; [unrolled: 1-line block ×3, first 2 shown]
	v_fma_f64 v[86:87], v[56:57], s[16:17], v[118:119]
	v_fma_f64 v[118:119], v[58:59], s[16:17], -v[120:121]
	v_mul_f64 v[82:83], v[130:131], s[24:25]
	v_fma_f64 v[120:121], v[56:57], s[6:7], -v[50:51]
	v_fma_f64 v[128:129], v[58:59], s[6:7], v[76:77]
	v_fma_f64 v[50:51], v[56:57], s[6:7], v[50:51]
	v_fma_f64 v[76:77], v[58:59], s[6:7], -v[76:77]
	v_mul_f64 v[84:85], v[132:133], s[24:25]
	v_add_f64 v[86:87], v[86:87], v[102:103]
	v_add_f64 v[102:103], v[118:119], v[104:105]
	v_mul_f64 v[118:119], v[132:133], s[34:35]
	v_add_f64 v[104:105], v[120:121], v[106:107]
	v_add_f64 v[106:107], v[128:129], v[108:109]
	;; [unrolled: 1-line block ×3, first 2 shown]
	v_add_f64 v[114:115], v[70:71], -v[62:63]
	v_add_f64 v[76:77], v[76:77], v[116:117]
	v_add_f64 v[116:117], v[68:69], -v[60:61]
	v_mul_f64 v[50:51], v[130:131], s[34:35]
	v_add_f64 v[120:121], v[68:69], v[60:61]
	v_fma_f64 v[134:135], v[56:57], s[22:23], -v[82:83]
	v_fma_f64 v[136:137], v[58:59], s[22:23], v[84:85]
	v_fma_f64 v[82:83], v[56:57], s[22:23], v[82:83]
	v_mul_f64 v[60:61], v[114:115], s[24:25]
	v_fma_f64 v[84:85], v[58:59], s[22:23], -v[84:85]
	v_add_f64 v[128:129], v[70:71], v[62:63]
	v_mul_f64 v[62:63], v[116:117], s[24:25]
	v_fma_f64 v[68:69], v[56:57], s[12:13], -v[50:51]
	v_fma_f64 v[70:71], v[58:59], s[12:13], v[118:119]
	v_fma_f64 v[50:51], v[56:57], s[12:13], v[50:51]
	v_fma_f64 v[56:57], v[58:59], s[12:13], -v[118:119]
	v_fma_f64 v[58:59], v[120:121], s[22:23], -v[60:61]
	v_add_f64 v[82:83], v[82:83], v[64:65]
	v_add_f64 v[84:85], v[84:85], v[66:67]
	v_fma_f64 v[64:65], v[128:129], s[22:23], v[62:63]
	v_add_f64 v[118:119], v[68:69], v[122:123]
	v_mul_f64 v[66:67], v[114:115], s[30:31]
	v_mul_f64 v[68:69], v[116:117], s[30:31]
	v_add_f64 v[122:123], v[70:71], v[124:125]
	v_add_f64 v[124:125], v[50:51], v[52:53]
	;; [unrolled: 1-line block ×3, first 2 shown]
	v_fma_f64 v[48:49], v[120:121], s[22:23], v[60:61]
	v_mul_f64 v[70:71], v[114:115], s[18:19]
	v_add_f64 v[130:131], v[56:57], v[54:55]
	v_add_f64 v[53:54], v[64:65], v[126:127]
	v_fma_f64 v[57:58], v[128:129], s[22:23], -v[62:63]
	v_fma_f64 v[59:60], v[120:121], s[6:7], -v[66:67]
	v_fma_f64 v[61:62], v[128:129], s[6:7], v[68:69]
	v_mul_f64 v[126:127], v[116:117], s[18:19]
	v_fma_f64 v[63:64], v[120:121], s[6:7], v[66:67]
	v_fma_f64 v[65:66], v[128:129], s[6:7], -v[68:69]
	v_add_f64 v[55:56], v[48:49], v[72:73]
	v_fma_f64 v[48:49], v[120:121], s[20:21], -v[70:71]
	v_add_f64 v[57:58], v[57:58], v[74:75]
	v_add_f64 v[59:60], v[59:60], v[78:79]
	;; [unrolled: 1-line block ×3, first 2 shown]
	v_fma_f64 v[72:73], v[128:129], s[20:21], v[126:127]
	v_add_f64 v[63:64], v[63:64], v[86:87]
	v_fma_f64 v[74:75], v[120:121], s[20:21], v[70:71]
	v_fma_f64 v[78:79], v[128:129], s[20:21], -v[126:127]
	v_mul_f64 v[80:81], v[114:115], s[34:35]
	v_mul_f64 v[86:87], v[116:117], s[34:35]
	v_add_f64 v[65:66], v[65:66], v[102:103]
	v_add_f64 v[67:68], v[48:49], v[104:105]
	v_mul_f64 v[48:49], v[114:115], s[14:15]
	v_mul_f64 v[102:103], v[116:117], s[14:15]
	v_add_f64 v[110:111], v[134:135], v[110:111]
	v_add_f64 v[112:113], v[136:137], v[112:113]
	v_add_f64 v[69:70], v[72:73], v[106:107]
	v_add_f64 v[71:72], v[74:75], v[108:109]
	v_add_f64 v[73:74], v[78:79], v[76:77]
	v_fma_f64 v[75:76], v[120:121], s[12:13], -v[80:81]
	v_fma_f64 v[77:78], v[128:129], s[12:13], v[86:87]
	v_fma_f64 v[79:80], v[120:121], s[12:13], v[80:81]
	v_fma_f64 v[86:87], v[128:129], s[12:13], -v[86:87]
	v_fma_f64 v[104:105], v[120:121], s[16:17], -v[48:49]
	v_fma_f64 v[106:107], v[128:129], s[16:17], v[102:103]
	v_fma_f64 v[48:49], v[120:121], s[16:17], v[48:49]
	v_fma_f64 v[108:109], v[128:129], s[16:17], -v[102:103]
	v_add_f64 v[75:76], v[75:76], v[110:111]
	v_add_f64 v[77:78], v[77:78], v[112:113]
	;; [unrolled: 1-line block ×6, first 2 shown]
	v_mov_b32_e32 v50, 4
	v_add_f64 v[102:103], v[48:49], v[124:125]
	v_add_f64 v[104:105], v[108:109], v[130:131]
	v_mad_u32_u24 v48, v100, s40, 0
	v_lshlrev_b32_sdwa v49, v50, v101 dst_sel:DWORD dst_unused:UNUSED_PAD src0_sel:DWORD src1_sel:BYTE_0
	v_add3_u32 v48, v48, v49, v98
	ds_write_b128 v48, v[44:47]
	ds_write_b128 v48, v[51:54] offset:96
	ds_write_b128 v48, v[59:62] offset:192
	;; [unrolled: 1-line block ×10, first 2 shown]
	s_and_saveexec_b64 s[36:37], vcc
	s_cbranch_execz .LBB0_16
; %bb.15:
	v_mul_lo_u16_sdwa v44, v94, s33 dst_sel:DWORD dst_unused:UNUSED_PAD src0_sel:BYTE_0 src1_sel:DWORD
	v_lshrrev_b16_e32 v51, 10, v44
	v_mul_lo_u16_e32 v44, 6, v51
	v_sub_u16_e32 v52, v94, v44
	v_mul_u32_u24_sdwa v44, v52, v89 dst_sel:DWORD dst_unused:UNUSED_PAD src0_sel:BYTE_0 src1_sel:DWORD
	v_lshlrev_b32_e32 v44, 4, v44
	global_load_dwordx4 v[46:49], v44, s[8:9] offset:64
	global_load_dwordx4 v[53:56], v44, s[8:9] offset:80
	;; [unrolled: 1-line block ×8, first 2 shown]
	global_load_dwordx4 v[81:84], v44, s[8:9]
	global_load_dwordx4 v[100:103], v44, s[8:9] offset:144
	s_mov_b32 s39, 0x3fe82f19
	s_mov_b32 s38, s18
	s_waitcnt vmcnt(9)
	v_mul_f64 v[44:45], v[20:21], v[48:49]
	s_waitcnt vmcnt(8)
	v_mul_f64 v[85:86], v[24:25], v[55:56]
	v_mul_f64 v[48:49], v[22:23], v[48:49]
	s_waitcnt vmcnt(7)
	v_mul_f64 v[104:105], v[16:17], v[59:60]
	s_waitcnt vmcnt(6)
	v_mul_f64 v[106:107], v[28:29], v[63:64]
	v_mul_f64 v[55:56], v[26:27], v[55:56]
	s_waitcnt vmcnt(3)
	v_mul_f64 v[112:113], v[8:9], v[75:76]
	;; [unrolled: 3-line block ×3, first 2 shown]
	s_waitcnt vmcnt(0)
	v_mul_f64 v[118:119], v[40:41], v[102:103]
	v_mul_f64 v[59:60], v[18:19], v[59:60]
	;; [unrolled: 1-line block ×7, first 2 shown]
	v_fma_f64 v[44:45], v[22:23], v[46:47], v[44:45]
	v_fma_f64 v[22:23], v[26:27], v[53:54], v[85:86]
	v_fma_f64 v[26:27], v[20:21], v[46:47], -v[48:49]
	v_fma_f64 v[46:47], v[18:19], v[57:58], v[104:105]
	v_fma_f64 v[18:19], v[30:31], v[61:62], v[106:107]
	v_fma_f64 v[106:107], v[10:11], v[73:74], v[112:113]
	v_fma_f64 v[73:74], v[8:9], v[73:74], -v[75:76]
	v_fma_f64 v[75:76], v[6:7], v[81:82], v[116:117]
	v_fma_f64 v[6:7], v[42:43], v[100:101], v[118:119]
	v_mul_f64 v[63:64], v[30:31], v[63:64]
	v_mul_f64 v[67:68], v[14:15], v[67:68]
	;; [unrolled: 1-line block ×4, first 2 shown]
	v_fma_f64 v[85:86], v[14:15], v[65:66], v[108:109]
	v_fma_f64 v[14:15], v[34:35], v[69:70], v[110:111]
	;; [unrolled: 1-line block ×3, first 2 shown]
	v_fma_f64 v[42:43], v[4:5], v[81:82], -v[83:84]
	v_fma_f64 v[4:5], v[40:41], v[100:101], -v[102:103]
	v_add_f64 v[102:103], v[75:76], v[6:7]
	v_fma_f64 v[24:25], v[24:25], v[53:54], -v[55:56]
	v_fma_f64 v[48:49], v[16:17], v[57:58], -v[59:60]
	;; [unrolled: 1-line block ×6, first 2 shown]
	v_add_f64 v[77:78], v[44:45], v[22:23]
	v_add_f64 v[79:80], v[46:47], v[18:19]
	;; [unrolled: 1-line block ×4, first 2 shown]
	v_add_f64 v[108:109], v[42:43], -v[4:5]
	v_add_f64 v[110:111], v[44:45], -v[22:23]
	;; [unrolled: 1-line block ×6, first 2 shown]
	v_mul_f64 v[53:54], v[102:103], s[22:23]
	v_add_f64 v[20:21], v[26:27], -v[24:25]
	v_add_f64 v[28:29], v[48:49], -v[16:17]
	;; [unrolled: 1-line block ×4, first 2 shown]
	v_add_f64 v[30:31], v[26:27], v[24:25]
	v_add_f64 v[112:113], v[48:49], v[16:17]
	;; [unrolled: 1-line block ×5, first 2 shown]
	v_mul_f64 v[34:35], v[77:78], s[16:17]
	v_mul_f64 v[36:37], v[79:80], s[12:13]
	;; [unrolled: 1-line block ×11, first 2 shown]
	v_fma_f64 v[148:149], v[108:109], s[26:27], v[53:54]
	v_mul_f64 v[71:72], v[83:84], s[16:17]
	v_mul_f64 v[136:137], v[122:123], s[28:29]
	v_fma_f64 v[140:141], v[20:21], s[28:29], v[34:35]
	v_fma_f64 v[142:143], v[28:29], s[10:11], v[36:37]
	;; [unrolled: 1-line block ×14, first 2 shown]
	v_fma_f64 v[53:54], v[30:31], s[16:17], -v[55:56]
	v_fma_f64 v[55:56], v[112:113], s[12:13], -v[57:58]
	;; [unrolled: 1-line block ×5, first 2 shown]
	v_fma_f64 v[168:169], v[108:109], s[38:39], v[128:129]
	v_fma_f64 v[172:173], v[124:125], s[20:21], v[138:139]
	v_add_f64 v[148:149], v[2:3], v[148:149]
	v_mul_f64 v[69:70], v[81:82], s[6:7]
	v_mul_f64 v[134:135], v[118:119], s[4:5]
	v_fma_f64 v[166:167], v[100:101], s[14:15], v[71:72]
	v_add_f64 v[158:159], v[0:1], v[158:159]
	v_add_f64 v[40:41], v[2:3], v[40:41]
	;; [unrolled: 1-line block ×3, first 2 shown]
	v_fma_f64 v[176:177], v[120:121], s[16:17], v[136:137]
	v_add_f64 v[168:169], v[2:3], v[168:169]
	v_add_f64 v[172:173], v[0:1], v[172:173]
	;; [unrolled: 1-line block ×3, first 2 shown]
	v_mul_f64 v[67:68], v[79:80], s[22:23]
	v_mul_f64 v[132:133], v[114:115], s[24:25]
	v_fma_f64 v[164:165], v[32:33], s[30:31], v[69:70]
	v_add_f64 v[148:149], v[156:157], v[158:159]
	v_add_f64 v[38:39], v[38:39], v[40:41]
	;; [unrolled: 1-line block ×3, first 2 shown]
	v_fma_f64 v[59:60], v[116:117], s[6:7], v[134:135]
	v_fma_f64 v[61:62], v[108:109], s[18:19], v[128:129]
	v_add_f64 v[128:129], v[166:167], v[168:169]
	v_add_f64 v[156:157], v[176:177], v[172:173]
	;; [unrolled: 1-line block ×3, first 2 shown]
	v_mul_f64 v[65:66], v[77:78], s[12:13]
	v_mul_f64 v[130:131], v[110:111], s[34:35]
	v_fma_f64 v[162:163], v[28:29], s[26:27], v[67:68]
	v_fma_f64 v[174:175], v[112:113], s[22:23], v[132:133]
	v_add_f64 v[36:37], v[36:37], v[38:39]
	v_add_f64 v[38:39], v[57:58], v[40:41]
	v_fma_f64 v[40:41], v[100:101], s[28:29], v[71:72]
	v_add_f64 v[57:58], v[2:3], v[61:62]
	v_add_f64 v[61:62], v[164:165], v[128:129]
	v_add_f64 v[59:60], v[59:60], v[156:157]
	v_add_f64 v[71:72], v[142:143], v[144:145]
	v_fma_f64 v[63:64], v[20:21], s[10:11], v[65:66]
	v_fma_f64 v[170:171], v[30:31], s[12:13], v[130:131]
	v_add_f64 v[146:147], v[154:155], v[148:149]
	v_add_f64 v[142:143], v[34:35], v[36:37]
	;; [unrolled: 1-line block ×3, first 2 shown]
	v_fma_f64 v[55:56], v[32:33], s[4:5], v[69:70]
	v_add_f64 v[57:58], v[40:41], v[57:58]
	v_add_f64 v[61:62], v[162:163], v[61:62]
	;; [unrolled: 1-line block ×4, first 2 shown]
	v_mul_f64 v[69:70], v[102:103], s[16:17]
	v_fma_f64 v[71:72], v[124:125], s[20:21], -v[138:139]
	v_add_f64 v[128:129], v[152:153], v[146:147]
	v_add_f64 v[38:39], v[53:54], v[38:39]
	v_fma_f64 v[67:68], v[28:29], s[24:25], v[67:68]
	v_add_f64 v[57:58], v[55:56], v[57:58]
	v_add_f64 v[55:56], v[63:64], v[61:62]
	;; [unrolled: 1-line block ×3, first 2 shown]
	v_fma_f64 v[59:60], v[120:121], s[16:17], -v[136:137]
	v_mul_f64 v[61:62], v[83:84], s[22:23]
	v_fma_f64 v[63:64], v[108:109], s[28:29], v[69:70]
	v_add_f64 v[71:72], v[0:1], v[71:72]
	v_add_f64 v[34:35], v[150:151], v[128:129]
	;; [unrolled: 1-line block ×3, first 2 shown]
	v_fma_f64 v[67:68], v[116:117], s[6:7], -v[134:135]
	v_mul_f64 v[128:129], v[126:127], s[14:15]
	v_mul_f64 v[134:135], v[81:82], s[12:13]
	v_fma_f64 v[136:137], v[100:101], s[24:25], v[61:62]
	v_add_f64 v[63:64], v[2:3], v[63:64]
	v_add_f64 v[59:60], v[59:60], v[71:72]
	;; [unrolled: 1-line block ×3, first 2 shown]
	v_fma_f64 v[71:72], v[30:31], s[12:13], -v[130:131]
	v_fma_f64 v[130:131], v[112:113], s[22:23], -v[132:133]
	v_mul_f64 v[132:133], v[122:123], s[26:27]
	v_fma_f64 v[138:139], v[124:125], s[16:17], v[128:129]
	v_mul_f64 v[140:141], v[79:80], s[6:7]
	v_fma_f64 v[142:143], v[32:33], s[10:11], v[134:135]
	v_add_f64 v[63:64], v[136:137], v[63:64]
	v_add_f64 v[59:60], v[67:68], v[59:60]
	v_fma_f64 v[69:70], v[108:109], s[14:15], v[69:70]
	v_fma_f64 v[65:66], v[20:21], s[34:35], v[65:66]
	;; [unrolled: 1-line block ×3, first 2 shown]
	v_add_f64 v[138:139], v[0:1], v[138:139]
	v_mul_f64 v[144:145], v[77:78], s[20:21]
	v_fma_f64 v[146:147], v[28:29], s[30:31], v[140:141]
	v_add_f64 v[63:64], v[142:143], v[63:64]
	v_fma_f64 v[61:62], v[100:101], s[26:27], v[61:62]
	v_add_f64 v[69:70], v[2:3], v[69:70]
	v_add_f64 v[130:131], v[130:131], v[59:60]
	v_mul_f64 v[67:68], v[118:119], s[34:35]
	v_add_f64 v[136:137], v[136:137], v[138:139]
	v_fma_f64 v[138:139], v[20:21], s[38:39], v[144:145]
	v_fma_f64 v[134:135], v[32:33], s[34:35], v[134:135]
	v_add_f64 v[63:64], v[146:147], v[63:64]
	v_add_f64 v[59:60], v[65:66], v[57:58]
	;; [unrolled: 1-line block ×4, first 2 shown]
	v_mul_f64 v[71:72], v[102:103], s[12:13]
	v_mul_f64 v[142:143], v[114:115], s[4:5]
	v_fma_f64 v[148:149], v[116:117], s[12:13], v[67:68]
	v_fma_f64 v[65:66], v[28:29], s[4:5], v[140:141]
	v_add_f64 v[63:64], v[138:139], v[63:64]
	v_fma_f64 v[128:129], v[124:125], s[16:17], -v[128:129]
	v_add_f64 v[61:62], v[134:135], v[61:62]
	v_mul_f64 v[138:139], v[83:84], s[20:21]
	v_fma_f64 v[140:141], v[108:109], s[34:35], v[71:72]
	v_add_f64 v[75:76], v[2:3], v[75:76]
	v_add_f64 v[42:43], v[0:1], v[42:43]
	v_fma_f64 v[69:70], v[112:113], s[6:7], v[142:143]
	v_add_f64 v[136:137], v[148:149], v[136:137]
	v_mul_f64 v[134:135], v[126:127], s[10:11]
	v_add_f64 v[65:66], v[65:66], v[61:62]
	v_fma_f64 v[61:62], v[120:121], s[22:23], -v[132:133]
	v_add_f64 v[128:129], v[0:1], v[128:129]
	v_mul_f64 v[148:149], v[81:82], s[22:23]
	v_fma_f64 v[150:151], v[100:101], s[38:39], v[138:139]
	v_add_f64 v[140:141], v[2:3], v[140:141]
	v_add_f64 v[75:76], v[75:76], v[106:107]
	;; [unrolled: 1-line block ×4, first 2 shown]
	v_fma_f64 v[136:137], v[20:21], s[18:19], v[144:145]
	v_mul_f64 v[132:133], v[122:123], s[18:19]
	v_fma_f64 v[144:145], v[124:125], s[12:13], v[134:135]
	v_fma_f64 v[67:68], v[116:117], s[12:13], -v[67:68]
	v_add_f64 v[61:62], v[61:62], v[128:129]
	v_mul_f64 v[128:129], v[79:80], s[16:17]
	v_fma_f64 v[156:157], v[32:33], s[24:25], v[148:149]
	v_add_f64 v[140:141], v[150:151], v[140:141]
	v_fma_f64 v[71:72], v[108:109], s[10:11], v[71:72]
	v_add_f64 v[75:76], v[75:76], v[85:86]
	v_add_f64 v[42:43], v[42:43], v[104:105]
	v_mul_f64 v[146:147], v[110:111], s[18:19]
	v_mul_f64 v[152:153], v[118:119], s[26:27]
	v_fma_f64 v[154:155], v[120:121], s[20:21], v[132:133]
	v_add_f64 v[144:145], v[0:1], v[144:145]
	v_add_f64 v[61:62], v[67:68], v[61:62]
	v_fma_f64 v[67:68], v[28:29], s[14:15], v[128:129]
	v_add_f64 v[140:141], v[156:157], v[140:141]
	v_fma_f64 v[138:139], v[100:101], s[18:19], v[138:139]
	v_add_f64 v[71:72], v[2:3], v[71:72]
	v_mul_f64 v[102:103], v[102:103], s[6:7]
	v_add_f64 v[46:47], v[75:76], v[46:47]
	v_add_f64 v[42:43], v[42:43], v[48:49]
	v_fma_f64 v[130:131], v[30:31], s[20:21], v[146:147]
	v_fma_f64 v[142:143], v[112:113], s[6:7], -v[142:143]
	v_fma_f64 v[158:159], v[116:117], s[22:23], v[152:153]
	v_add_f64 v[144:145], v[154:155], v[144:145]
	v_mul_f64 v[154:155], v[77:78], s[6:7]
	v_add_f64 v[140:141], v[67:68], v[140:141]
	v_add_f64 v[67:68], v[136:137], v[65:66]
	v_fma_f64 v[134:135], v[124:125], s[12:13], -v[134:135]
	v_add_f64 v[136:137], v[138:139], v[71:72]
	v_mul_f64 v[83:84], v[83:84], s[12:13]
	v_fma_f64 v[138:139], v[108:109], s[30:31], v[102:103]
	v_mul_f64 v[48:49], v[126:127], s[4:5]
	v_add_f64 v[44:45], v[46:47], v[44:45]
	v_add_f64 v[26:27], v[42:43], v[26:27]
	;; [unrolled: 1-line block ×4, first 2 shown]
	v_fma_f64 v[158:159], v[20:21], s[4:5], v[154:155]
	v_add_f64 v[61:62], v[130:131], v[69:70]
	v_fma_f64 v[130:131], v[32:33], s[26:27], v[148:149]
	v_fma_f64 v[132:133], v[120:121], s[20:21], -v[132:133]
	v_add_f64 v[134:135], v[0:1], v[134:135]
	v_mul_f64 v[81:82], v[81:82], s[16:17]
	v_fma_f64 v[73:74], v[100:101], s[34:35], v[83:84]
	v_add_f64 v[106:107], v[2:3], v[138:139]
	v_fma_f64 v[102:103], v[108:109], s[4:5], v[102:103]
	v_mul_f64 v[108:109], v[122:123], s[10:11]
	v_fma_f64 v[42:43], v[124:125], s[6:7], -v[48:49]
	v_fma_f64 v[48:49], v[124:125], s[6:7], v[48:49]
	v_add_f64 v[22:23], v[44:45], v[22:23]
	v_add_f64 v[24:25], v[26:27], v[24:25]
	v_mul_f64 v[150:151], v[114:115], s[28:29]
	v_add_f64 v[71:72], v[158:159], v[140:141]
	v_fma_f64 v[128:129], v[28:29], s[28:29], v[128:129]
	v_add_f64 v[130:131], v[130:131], v[136:137]
	v_fma_f64 v[140:141], v[116:117], s[22:23], -v[152:153]
	v_add_f64 v[132:133], v[132:133], v[134:135]
	v_fma_f64 v[85:86], v[32:33], s[28:29], v[81:82]
	v_add_f64 v[73:74], v[73:74], v[106:107]
	v_mul_f64 v[46:47], v[118:119], s[14:15]
	v_fma_f64 v[83:84], v[100:101], s[10:11], v[83:84]
	v_add_f64 v[2:3], v[2:3], v[102:103]
	v_fma_f64 v[100:101], v[120:121], s[12:13], -v[108:109]
	v_add_f64 v[26:27], v[0:1], v[42:43]
	v_fma_f64 v[42:43], v[120:121], s[12:13], v[108:109]
	v_add_f64 v[0:1], v[0:1], v[48:49]
	v_add_f64 v[18:19], v[22:23], v[18:19]
	;; [unrolled: 1-line block ×4, first 2 shown]
	v_fma_f64 v[130:131], v[112:113], s[16:17], -v[150:151]
	v_add_f64 v[132:133], v[140:141], v[132:133]
	v_mul_f64 v[79:80], v[79:80], s[20:21]
	v_add_f64 v[73:74], v[85:86], v[73:74]
	v_mul_f64 v[85:86], v[114:115], s[18:19]
	v_fma_f64 v[32:33], v[32:33], s[14:15], v[81:82]
	v_add_f64 v[2:3], v[83:84], v[2:3]
	v_fma_f64 v[44:45], v[116:117], s[16:17], -v[46:47]
	v_add_f64 v[22:23], v[100:101], v[26:27]
	v_fma_f64 v[24:25], v[116:117], s[16:17], v[46:47]
	v_add_f64 v[0:1], v[42:43], v[0:1]
	v_add_f64 v[14:15], v[18:19], v[14:15]
	;; [unrolled: 1-line block ×3, first 2 shown]
	v_mul_f64 v[77:78], v[77:78], s[22:23]
	v_add_f64 v[106:107], v[130:131], v[132:133]
	v_fma_f64 v[132:133], v[28:29], s[38:39], v[79:80]
	v_mul_f64 v[75:76], v[110:111], s[24:25]
	v_fma_f64 v[26:27], v[28:29], s[18:19], v[79:80]
	v_add_f64 v[2:3], v[32:33], v[2:3]
	v_fma_f64 v[28:29], v[112:113], s[20:21], -v[85:86]
	v_add_f64 v[16:17], v[44:45], v[22:23]
	v_mul_f64 v[156:157], v[110:111], s[30:31]
	v_fma_f64 v[160:161], v[112:113], s[16:17], v[150:151]
	v_fma_f64 v[18:19], v[112:113], s[20:21], v[85:86]
	v_add_f64 v[0:1], v[24:25], v[0:1]
	v_add_f64 v[10:11], v[14:15], v[10:11]
	;; [unrolled: 1-line block ×3, first 2 shown]
	v_fma_f64 v[136:137], v[20:21], s[30:31], v[154:155]
	v_fma_f64 v[130:131], v[20:21], s[26:27], v[77:78]
	;; [unrolled: 1-line block ×3, first 2 shown]
	v_add_f64 v[22:23], v[26:27], v[2:3]
	v_fma_f64 v[24:25], v[30:31], s[22:23], -v[75:76]
	v_add_f64 v[16:17], v[28:29], v[16:17]
	v_fma_f64 v[104:105], v[30:31], s[6:7], -v[156:157]
	v_fma_f64 v[146:147], v[30:31], s[20:21], -v[146:147]
	v_fma_f64 v[162:163], v[30:31], s[6:7], v[156:157]
	v_add_f64 v[144:145], v[160:161], v[144:145]
	v_add_f64 v[26:27], v[132:133], v[73:74]
	v_fma_f64 v[28:29], v[30:31], s[22:23], v[75:76]
	v_add_f64 v[18:19], v[18:19], v[0:1]
	v_add_f64 v[12:13], v[10:11], v[6:7]
	;; [unrolled: 1-line block ×8, first 2 shown]
	v_mad_u32_u24 v4, v51, s40, 0
	v_lshlrev_b32_sdwa v5, v50, v52 dst_sel:DWORD dst_unused:UNUSED_PAD src0_sel:DWORD src1_sel:BYTE_0
	v_add3_u32 v4, v4, v5, v98
	v_add_f64 v[69:70], v[162:163], v[144:145]
	v_add_f64 v[16:17], v[130:131], v[26:27]
	;; [unrolled: 1-line block ×3, first 2 shown]
	ds_write_b128 v4, v[10:13]
	ds_write_b128 v4, v[6:9] offset:96
	ds_write_b128 v4, v[0:3] offset:192
	ds_write_b128 v4, v[65:68] offset:288
	ds_write_b128 v4, v[57:60] offset:384
	ds_write_b128 v4, v[38:41] offset:480
	ds_write_b128 v4, v[34:37] offset:576
	ds_write_b128 v4, v[53:56] offset:672
	ds_write_b128 v4, v[61:64] offset:768
	ds_write_b128 v4, v[69:72] offset:864
	ds_write_b128 v4, v[14:17] offset:960
.LBB0_16:
	s_or_b64 exec, exec, s[36:37]
	v_mov_b32_e32 v89, 0
	s_movk_i32 s4, 0xf9
	v_lshlrev_b64 v[8:9], 4, v[88:89]
	v_mul_lo_u16_sdwa v0, v92, s4 dst_sel:DWORD dst_unused:UNUSED_PAD src0_sel:BYTE_0 src1_sel:DWORD
	v_lshrrev_b16_e32 v0, 14, v0
	v_mov_b32_e32 v11, s9
	v_add_co_u32_e32 v4, vcc, s8, v8
	v_mul_lo_u16_e32 v0, 0x42, v0
	v_add_u32_e32 v10, 0xc6, v88
	v_addc_co_u32_e32 v5, vcc, v11, v9, vcc
	v_sub_u16_e32 v0, v92, v0
	s_mov_b32 s4, 0xf83f
	s_waitcnt lgkmcnt(0)
	s_barrier
	v_lshlrev_b32_sdwa v135, v50, v0 dst_sel:DWORD dst_unused:UNUSED_PAD src0_sel:DWORD src1_sel:BYTE_0
	global_load_dwordx4 v[0:3], v[4:5], off offset:960
	global_load_dwordx4 v[14:17], v135, s[8:9] offset:960
	v_mul_u32_u24_sdwa v4, v10, s4 dst_sel:DWORD dst_unused:UNUSED_PAD src0_sel:WORD_0 src1_sel:DWORD
	v_lshrrev_b32_e32 v4, 22, v4
	v_add_u32_e32 v7, 0x108, v88
	v_mul_lo_u16_e32 v4, 0x42, v4
	v_sub_u16_e32 v4, v10, v4
	v_mul_u32_u24_sdwa v13, v7, s4 dst_sel:DWORD dst_unused:UNUSED_PAD src0_sel:WORD_0 src1_sel:DWORD
	v_lshlrev_b32_e32 v136, 4, v4
	v_lshrrev_b32_e32 v4, 22, v13
	v_add_u32_e32 v6, 0x14a, v88
	v_mul_lo_u16_e32 v4, 0x42, v4
	v_sub_u16_e32 v4, v7, v4
	v_mul_u32_u24_sdwa v12, v6, s4 dst_sel:DWORD dst_unused:UNUSED_PAD src0_sel:WORD_0 src1_sel:DWORD
	v_lshlrev_b32_e32 v137, 4, v4
	v_lshrrev_b32_e32 v4, 22, v12
	v_mul_lo_u16_e32 v4, 0x42, v4
	v_add_u32_e32 v26, 0x18c, v88
	v_sub_u16_e32 v4, v6, v4
	v_lshlrev_b32_e32 v138, 4, v4
	v_mul_u32_u24_sdwa v4, v26, s4 dst_sel:DWORD dst_unused:UNUSED_PAD src0_sel:WORD_0 src1_sel:DWORD
	v_lshrrev_b32_e32 v4, 22, v4
	v_mul_lo_u16_e32 v4, 0x42, v4
	v_add_u32_e32 v34, 0x1ce, v88
	v_sub_u16_e32 v4, v26, v4
	global_load_dwordx4 v[18:21], v136, s[8:9] offset:960
	global_load_dwordx4 v[22:25], v137, s[8:9] offset:960
	v_lshlrev_b32_e32 v139, 4, v4
	v_mul_u32_u24_sdwa v4, v34, s4 dst_sel:DWORD dst_unused:UNUSED_PAD src0_sel:WORD_0 src1_sel:DWORD
	global_load_dwordx4 v[26:29], v138, s[8:9] offset:960
	global_load_dwordx4 v[30:33], v139, s[8:9] offset:960
	v_lshrrev_b32_e32 v4, 22, v4
	v_mul_lo_u16_e32 v4, 0x42, v4
	v_add_u32_e32 v35, 0x210, v88
	v_sub_u16_e32 v4, v34, v4
	v_lshlrev_b32_e32 v140, 4, v4
	v_mul_u32_u24_sdwa v4, v35, s4 dst_sel:DWORD dst_unused:UNUSED_PAD src0_sel:WORD_0 src1_sel:DWORD
	v_lshrrev_b32_e32 v4, 22, v4
	v_mul_lo_u16_e32 v4, 0x42, v4
	v_sub_u16_e32 v4, v35, v4
	global_load_dwordx4 v[34:37], v140, s[8:9] offset:960
	v_lshlrev_b32_e32 v141, 4, v4
	global_load_dwordx4 v[38:41], v141, s[8:9] offset:960
	v_add3_u32 v4, 0, v99, v98
	ds_read_b128 v[42:45], v95 offset:10560
	ds_read_b128 v[46:49], v95 offset:11616
	ds_read_b128 v[50:53], v96
	ds_read_b128 v[54:57], v95 offset:3168
	ds_read_b128 v[58:61], v95 offset:12672
	;; [unrolled: 1-line block ×13, first 2 shown]
	v_lshlrev_b32_e32 v5, 4, v92
	v_add3_u32 v5, 0, v5, v98
	ds_read_b128 v[119:122], v4
	ds_read_b128 v[123:126], v5
	s_waitcnt vmcnt(0) lgkmcnt(0)
	s_barrier
	v_lshrrev_b32_e32 v13, 23, v13
	v_mul_lo_u16_e32 v13, 0x84, v13
	v_lshrrev_b32_e32 v12, 23, v12
	v_mul_lo_u16_e32 v12, 0x84, v12
	s_mov_b32 s4, 0xe8584caa
	s_mov_b32 s5, 0x3febb67a
	;; [unrolled: 1-line block ×4, first 2 shown]
	s_movk_i32 s10, 0x1860
	s_movk_i32 s11, 0x1000
	v_mul_f64 v[86:87], v[105:106], v[2:3]
	v_mul_f64 v[127:128], v[103:104], v[2:3]
	;; [unrolled: 1-line block ×6, first 2 shown]
	v_fma_f64 v[86:87], v[103:104], v[0:1], -v[86:87]
	v_fma_f64 v[103:104], v[105:106], v[0:1], v[127:128]
	v_fma_f64 v[42:43], v[42:43], v[0:1], -v[129:130]
	v_fma_f64 v[44:45], v[44:45], v[0:1], v[2:3]
	;; [unrolled: 2-line block ×3, first 2 shown]
	v_mul_f64 v[133:134], v[60:61], v[20:21]
	v_mul_f64 v[0:1], v[58:59], v[20:21]
	v_mul_f64 v[20:21], v[62:63], v[24:25]
	v_mul_f64 v[2:3], v[64:65], v[24:25]
	v_mul_f64 v[24:25], v[76:77], v[28:29]
	v_mul_f64 v[28:29], v[74:75], v[28:29]
	v_mul_f64 v[14:15], v[80:81], v[32:33]
	v_mul_f64 v[16:17], v[78:79], v[32:33]
	v_fma_f64 v[58:59], v[58:59], v[18:19], -v[133:134]
	v_fma_f64 v[60:61], v[60:61], v[18:19], v[0:1]
	v_fma_f64 v[64:65], v[64:65], v[22:23], v[20:21]
	v_fma_f64 v[62:63], v[62:63], v[22:23], -v[2:3]
	v_fma_f64 v[74:75], v[74:75], v[26:27], -v[24:25]
	v_fma_f64 v[76:77], v[76:77], v[26:27], v[28:29]
	v_add_f64 v[0:1], v[50:51], -v[86:87]
	v_mul_f64 v[18:19], v[113:114], v[36:37]
	v_mul_f64 v[20:21], v[111:112], v[36:37]
	;; [unrolled: 1-line block ×4, first 2 shown]
	v_add_f64 v[2:3], v[52:53], -v[103:104]
	v_fma_f64 v[78:79], v[78:79], v[30:31], -v[14:15]
	v_fma_f64 v[80:81], v[80:81], v[30:31], v[16:17]
	v_add_f64 v[26:27], v[54:55], -v[58:59]
	v_add_f64 v[28:29], v[56:57], -v[60:61]
	v_fma_f64 v[86:87], v[111:112], v[34:35], -v[18:19]
	v_fma_f64 v[103:104], v[113:114], v[34:35], v[20:21]
	v_fma_f64 v[105:106], v[115:116], v[38:39], -v[22:23]
	v_fma_f64 v[111:112], v[117:118], v[38:39], v[24:25]
	v_add_f64 v[22:23], v[123:124], -v[46:47]
	v_add_f64 v[24:25], v[125:126], -v[48:49]
	;; [unrolled: 1-line block ×6, first 2 shown]
	v_fma_f64 v[14:15], v[50:51], 2.0, -v[0:1]
	v_fma_f64 v[16:17], v[52:53], 2.0, -v[2:3]
	v_add_f64 v[50:51], v[70:71], -v[74:75]
	v_add_f64 v[52:53], v[72:73], -v[76:77]
	v_fma_f64 v[42:43], v[54:55], 2.0, -v[26:27]
	v_fma_f64 v[44:45], v[56:57], 2.0, -v[28:29]
	v_add_f64 v[54:55], v[82:83], -v[78:79]
	v_add_f64 v[56:57], v[84:85], -v[80:81]
	;; [unrolled: 1-line block ×6, first 2 shown]
	v_fma_f64 v[38:39], v[123:124], 2.0, -v[22:23]
	v_fma_f64 v[40:41], v[125:126], 2.0, -v[24:25]
	;; [unrolled: 1-line block ×14, first 2 shown]
	ds_write_b128 v95, v[14:17]
	ds_write_b128 v95, v[0:3] offset:1056
	ds_write_b128 v95, v[34:37] offset:2112
	;; [unrolled: 1-line block ×3, first 2 shown]
	v_add3_u32 v0, 0, v135, v98
	ds_write_b128 v0, v[38:41] offset:4224
	ds_write_b128 v0, v[22:25] offset:5280
	v_add3_u32 v0, 0, v136, v98
	ds_write_b128 v0, v[42:45] offset:6336
	ds_write_b128 v0, v[26:29] offset:7392
	;; [unrolled: 3-line block ×7, first 2 shown]
	v_lshlrev_b32_e32 v0, 1, v88
	v_mov_b32_e32 v1, v89
	v_lshlrev_b64 v[0:1], 4, v[0:1]
	s_waitcnt lgkmcnt(0)
	v_add_co_u32_e32 v0, vcc, s8, v0
	v_addc_co_u32_e32 v1, vcc, v11, v1, vcc
	s_barrier
	global_load_dwordx4 v[14:17], v[0:1], off offset:2016
	global_load_dwordx4 v[18:21], v[0:1], off offset:2032
	v_lshlrev_b32_e32 v2, 1, v94
	v_mov_b32_e32 v3, v89
	v_lshlrev_b64 v[2:3], 4, v[2:3]
	v_sub_u16_e32 v139, v7, v13
	v_add_co_u32_e32 v2, vcc, s8, v2
	v_addc_co_u32_e32 v3, vcc, v11, v3, vcc
	global_load_dwordx4 v[22:25], v[2:3], off offset:2016
	global_load_dwordx4 v[26:29], v[2:3], off offset:2032
	v_lshlrev_b32_e32 v13, 5, v139
	global_load_dwordx4 v[30:33], v13, s[8:9] offset:2016
	global_load_dwordx4 v[34:37], v13, s[8:9] offset:2032
	v_sub_u16_e32 v140, v6, v12
	v_lshlrev_b32_e32 v12, 5, v140
	global_load_dwordx4 v[38:41], v12, s[8:9] offset:2016
	global_load_dwordx4 v[42:45], v12, s[8:9] offset:2032
	ds_read_b128 v[46:49], v95 offset:6336
	ds_read_b128 v[50:53], v95 offset:7392
	ds_read_b128 v[54:57], v95 offset:12672
	ds_read_b128 v[58:61], v95 offset:13728
	ds_read_b128 v[62:65], v4
	ds_read_b128 v[66:69], v5
	;; [unrolled: 1-line block ×3, first 2 shown]
	ds_read_b128 v[74:77], v95 offset:3168
	ds_read_b128 v[78:81], v95 offset:8448
	;; [unrolled: 1-line block ×11, first 2 shown]
	s_waitcnt vmcnt(0) lgkmcnt(0)
	s_barrier
	v_lshlrev_b32_e32 v6, 1, v6
	v_mul_f64 v[12:13], v[48:49], v[16:17]
	v_mul_f64 v[86:87], v[46:47], v[16:17]
	;; [unrolled: 1-line block ×4, first 2 shown]
	v_fma_f64 v[46:47], v[46:47], v[14:15], -v[12:13]
	v_mul_f64 v[12:13], v[54:55], v[20:21]
	v_fma_f64 v[48:49], v[48:49], v[14:15], v[86:87]
	v_mul_f64 v[86:87], v[52:53], v[24:25]
	v_mul_f64 v[133:134], v[50:51], v[24:25]
	v_fma_f64 v[54:55], v[54:55], v[18:19], -v[131:132]
	v_mul_f64 v[131:132], v[60:61], v[28:29]
	v_mul_f64 v[135:136], v[58:59], v[28:29]
	v_fma_f64 v[56:57], v[56:57], v[18:19], v[12:13]
	v_mul_f64 v[12:13], v[78:79], v[16:17]
	v_mul_f64 v[16:17], v[101:102], v[20:21]
	;; [unrolled: 1-line block ×3, first 2 shown]
	v_fma_f64 v[50:51], v[50:51], v[22:23], -v[86:87]
	v_fma_f64 v[78:79], v[78:79], v[14:15], -v[137:138]
	v_fma_f64 v[52:53], v[52:53], v[22:23], v[133:134]
	v_fma_f64 v[58:59], v[58:59], v[26:27], -v[131:132]
	v_fma_f64 v[60:61], v[60:61], v[26:27], v[135:136]
	v_fma_f64 v[80:81], v[80:81], v[14:15], v[12:13]
	v_mul_f64 v[12:13], v[84:85], v[24:25]
	v_mul_f64 v[14:15], v[82:83], v[24:25]
	v_fma_f64 v[86:87], v[99:100], v[18:19], -v[16:17]
	v_mul_f64 v[16:17], v[105:106], v[28:29]
	v_mul_f64 v[24:25], v[103:104], v[28:29]
	;; [unrolled: 1-line block ×3, first 2 shown]
	v_fma_f64 v[99:100], v[101:102], v[18:19], v[20:21]
	v_mul_f64 v[18:19], v[115:116], v[32:33]
	v_fma_f64 v[82:83], v[82:83], v[22:23], -v[12:13]
	v_mul_f64 v[12:13], v[125:126], v[36:37]
	v_fma_f64 v[84:85], v[84:85], v[22:23], v[14:15]
	v_fma_f64 v[101:102], v[103:104], v[26:27], -v[16:17]
	v_fma_f64 v[103:104], v[105:106], v[26:27], v[24:25]
	v_fma_f64 v[105:106], v[115:116], v[30:31], -v[28:29]
	v_mul_f64 v[14:15], v[123:124], v[36:37]
	v_fma_f64 v[115:116], v[117:118], v[30:31], v[18:19]
	v_add_f64 v[18:19], v[46:47], v[54:55]
	v_fma_f64 v[117:118], v[123:124], v[34:35], -v[12:13]
	v_mul_f64 v[12:13], v[119:120], v[40:41]
	v_mul_f64 v[20:21], v[129:130], v[44:45]
	;; [unrolled: 1-line block ×4, first 2 shown]
	v_fma_f64 v[123:124], v[125:126], v[34:35], v[14:15]
	v_add_f64 v[14:15], v[70:71], v[46:47]
	v_fma_f64 v[18:19], v[18:19], -0.5, v[70:71]
	v_add_f64 v[30:31], v[52:53], v[60:61]
	v_fma_f64 v[70:71], v[121:122], v[38:39], v[12:13]
	v_fma_f64 v[121:122], v[127:128], v[42:43], -v[20:21]
	v_add_f64 v[20:21], v[48:49], v[56:57]
	v_fma_f64 v[125:126], v[129:130], v[42:43], v[22:23]
	v_add_f64 v[22:23], v[50:51], v[58:59]
	v_add_f64 v[36:37], v[78:79], v[86:87]
	v_add_f64 v[24:25], v[48:49], -v[56:57]
	v_add_f64 v[28:29], v[46:47], -v[54:55]
	v_fma_f64 v[119:120], v[119:120], v[38:39], -v[16:17]
	v_add_f64 v[12:13], v[14:15], v[54:55]
	v_fma_f64 v[26:27], v[20:21], -0.5, v[72:73]
	v_add_f64 v[14:15], v[72:73], v[48:49]
	v_fma_f64 v[32:33], v[22:23], -0.5, v[62:63]
	v_add_f64 v[34:35], v[52:53], -v[60:61]
	v_fma_f64 v[38:39], v[30:31], -0.5, v[64:65]
	v_add_f64 v[40:41], v[50:51], -v[58:59]
	v_add_f64 v[42:43], v[66:67], v[78:79]
	v_add_f64 v[44:45], v[80:81], v[99:100]
	v_fma_f64 v[46:47], v[36:37], -0.5, v[66:67]
	v_add_f64 v[48:49], v[80:81], -v[99:100]
	v_fma_f64 v[16:17], v[24:25], s[4:5], v[18:19]
	v_fma_f64 v[20:21], v[24:25], s[6:7], v[18:19]
	;; [unrolled: 1-line block ×4, first 2 shown]
	v_add_f64 v[26:27], v[64:65], v[52:53]
	v_add_f64 v[24:25], v[62:63], v[50:51]
	v_fma_f64 v[28:29], v[34:35], s[4:5], v[32:33]
	v_fma_f64 v[32:33], v[34:35], s[6:7], v[32:33]
	;; [unrolled: 1-line block ×3, first 2 shown]
	v_add_f64 v[50:51], v[68:69], v[80:81]
	v_fma_f64 v[34:35], v[40:41], s[4:5], v[38:39]
	v_add_f64 v[36:37], v[42:43], v[86:87]
	v_add_f64 v[42:43], v[82:83], v[101:102]
	v_fma_f64 v[52:53], v[44:45], -0.5, v[68:69]
	v_add_f64 v[54:55], v[78:79], -v[86:87]
	v_fma_f64 v[40:41], v[48:49], s[4:5], v[46:47]
	v_fma_f64 v[44:45], v[48:49], s[6:7], v[46:47]
	v_add_f64 v[48:49], v[84:85], v[103:104]
	v_add_f64 v[26:27], v[26:27], v[60:61]
	;; [unrolled: 1-line block ×7, first 2 shown]
	v_fma_f64 v[56:57], v[42:43], -0.5, v[74:75]
	v_add_f64 v[58:59], v[84:85], -v[103:104]
	v_fma_f64 v[42:43], v[54:55], s[6:7], v[52:53]
	v_fma_f64 v[46:47], v[54:55], s[4:5], v[52:53]
	v_add_f64 v[54:55], v[76:77], v[84:85]
	v_fma_f64 v[62:63], v[48:49], -0.5, v[76:77]
	v_add_f64 v[64:65], v[82:83], -v[101:102]
	v_add_f64 v[66:67], v[107:108], v[105:106]
	v_fma_f64 v[68:69], v[60:61], -0.5, v[107:108]
	v_add_f64 v[72:73], v[115:116], -v[123:124]
	v_add_f64 v[74:75], v[115:116], v[123:124]
	v_add_f64 v[48:49], v[50:51], v[101:102]
	v_fma_f64 v[52:53], v[58:59], s[4:5], v[56:57]
	v_fma_f64 v[56:57], v[58:59], s[6:7], v[56:57]
	v_add_f64 v[50:51], v[54:55], v[103:104]
	v_fma_f64 v[54:55], v[64:65], s[6:7], v[62:63]
	v_fma_f64 v[58:59], v[64:65], s[4:5], v[62:63]
	v_add_f64 v[60:61], v[66:67], v[117:118]
	v_add_f64 v[62:63], v[119:120], v[121:122]
	;; [unrolled: 1-line block ×3, first 2 shown]
	v_fma_f64 v[64:65], v[72:73], s[4:5], v[68:69]
	v_fma_f64 v[68:69], v[72:73], s[6:7], v[68:69]
	v_add_f64 v[72:73], v[109:110], v[115:116]
	v_fma_f64 v[74:75], v[74:75], -0.5, v[109:110]
	v_add_f64 v[76:77], v[105:106], -v[117:118]
	v_add_f64 v[78:79], v[111:112], v[119:120]
	v_add_f64 v[84:85], v[113:114], v[70:71]
	v_fma_f64 v[80:81], v[62:63], -0.5, v[111:112]
	v_add_f64 v[82:83], v[70:71], -v[125:126]
	v_fma_f64 v[86:87], v[66:67], -0.5, v[113:114]
	v_add_f64 v[99:100], v[119:120], -v[121:122]
	v_add_f64 v[62:63], v[72:73], v[123:124]
	v_fma_f64 v[66:67], v[76:77], s[6:7], v[74:75]
	v_fma_f64 v[70:71], v[76:77], s[4:5], v[74:75]
	v_add_f64 v[72:73], v[78:79], v[121:122]
	v_add_f64 v[74:75], v[84:85], v[125:126]
	ds_write_b128 v95, v[12:15]
	ds_write_b128 v95, v[16:19] offset:2112
	ds_write_b128 v95, v[20:23] offset:4224
	ds_write_b128 v4, v[24:27]
	ds_write_b128 v4, v[28:31] offset:2112
	ds_write_b128 v4, v[32:35] offset:4224
	;; [unrolled: 1-line block ×8, first 2 shown]
	v_add_co_u32_e32 v16, vcc, s10, v0
	v_fma_f64 v[76:77], v[82:83], s[4:5], v[80:81]
	v_fma_f64 v[78:79], v[99:100], s[6:7], v[86:87]
	v_addc_co_u32_e32 v17, vcc, 0, v1, vcc
	v_fma_f64 v[80:81], v[82:83], s[6:7], v[80:81]
	v_fma_f64 v[82:83], v[99:100], s[4:5], v[86:87]
	v_add_co_u32_e32 v0, vcc, s11, v0
	v_addc_co_u32_e32 v1, vcc, 0, v1, vcc
	v_lshlrev_b32_e32 v12, 4, v139
	v_add_co_u32_e32 v24, vcc, s10, v2
	v_add3_u32 v12, 0, v12, v98
	v_addc_co_u32_e32 v25, vcc, 0, v3, vcc
	ds_write_b128 v12, v[60:63] offset:12672
	ds_write_b128 v12, v[64:67] offset:14784
	;; [unrolled: 1-line block ×3, first 2 shown]
	v_lshlrev_b32_e32 v12, 4, v140
	v_add_co_u32_e32 v26, vcc, s11, v2
	v_add3_u32 v12, 0, v12, v98
	v_addc_co_u32_e32 v27, vcc, 0, v3, vcc
	ds_write_b128 v12, v[72:75] offset:12672
	ds_write_b128 v12, v[76:79] offset:14784
	;; [unrolled: 1-line block ×3, first 2 shown]
	s_waitcnt lgkmcnt(0)
	s_barrier
	global_load_dwordx4 v[12:15], v[0:1], off offset:2144
	s_nop 0
	global_load_dwordx4 v[16:19], v[16:17], off offset:16
	s_nop 0
	global_load_dwordx4 v[0:3], v[26:27], off offset:2144
	global_load_dwordx4 v[20:23], v[24:25], off offset:16
	v_lshlrev_b32_e32 v24, 1, v92
	v_mov_b32_e32 v25, v89
	v_lshlrev_b64 v[24:25], 4, v[24:25]
	v_add_co_u32_e32 v24, vcc, s8, v24
	v_addc_co_u32_e32 v25, vcc, v11, v25, vcc
	v_add_co_u32_e32 v32, vcc, s10, v24
	v_addc_co_u32_e32 v33, vcc, 0, v25, vcc
	v_add_co_u32_e32 v34, vcc, s11, v24
	v_addc_co_u32_e32 v35, vcc, 0, v25, vcc
	global_load_dwordx4 v[24:27], v[34:35], off offset:2144
	global_load_dwordx4 v[28:31], v[32:33], off offset:16
	v_lshlrev_b32_e32 v32, 1, v10
	v_mov_b32_e32 v33, v89
	v_lshlrev_b64 v[32:33], 4, v[32:33]
	v_add_co_u32_e32 v10, vcc, s8, v32
	v_addc_co_u32_e32 v32, vcc, v11, v33, vcc
	v_add_co_u32_e32 v40, vcc, s10, v10
	v_addc_co_u32_e32 v41, vcc, 0, v32, vcc
	v_add_co_u32_e32 v42, vcc, s11, v10
	v_addc_co_u32_e32 v43, vcc, 0, v32, vcc
	;; [unrolled: 11-line block ×3, first 2 shown]
	global_load_dwordx4 v[40:43], v[50:51], off offset:2144
	global_load_dwordx4 v[44:47], v[48:49], off offset:16
	v_mov_b32_e32 v7, v89
	v_lshlrev_b64 v[6:7], 4, v[6:7]
	v_add_co_u32_e32 v10, vcc, s8, v6
	v_addc_co_u32_e32 v11, vcc, v11, v7, vcc
	v_add_co_u32_e32 v6, vcc, s11, v10
	v_addc_co_u32_e32 v7, vcc, 0, v11, vcc
	global_load_dwordx4 v[48:51], v[6:7], off offset:2144
	v_add_co_u32_e32 v6, vcc, s10, v10
	v_addc_co_u32_e32 v7, vcc, 0, v11, vcc
	global_load_dwordx4 v[52:55], v[6:7], off offset:16
	ds_read_b128 v[56:59], v95 offset:6336
	ds_read_b128 v[60:63], v95 offset:7392
	;; [unrolled: 1-line block ×4, first 2 shown]
	ds_read_b128 v[72:75], v4
	ds_read_b128 v[76:79], v5
	;; [unrolled: 1-line block ×3, first 2 shown]
	ds_read_b128 v[84:87], v95 offset:3168
	ds_read_b128 v[98:101], v95 offset:8448
	ds_read_b128 v[102:105], v95 offset:9504
	ds_read_b128 v[106:109], v95 offset:14784
	ds_read_b128 v[110:113], v95 offset:15840
	ds_read_b128 v[114:117], v95 offset:4224
	ds_read_b128 v[118:121], v95 offset:5280
	ds_read_b128 v[122:125], v95 offset:10560
	ds_read_b128 v[126:129], v95 offset:11616
	ds_read_b128 v[130:133], v95 offset:16896
	ds_read_b128 v[134:137], v95 offset:17952
	s_waitcnt vmcnt(0) lgkmcnt(0)
	s_barrier
	v_cmp_ne_u32_e32 vcc, 0, v88
	v_mul_f64 v[6:7], v[58:59], v[14:15]
	v_mul_f64 v[10:11], v[56:57], v[14:15]
	;; [unrolled: 1-line block ×4, first 2 shown]
	v_fma_f64 v[6:7], v[56:57], v[12:13], -v[6:7]
	v_mul_f64 v[56:57], v[62:63], v[2:3]
	v_fma_f64 v[10:11], v[58:59], v[12:13], v[10:11]
	v_fma_f64 v[12:13], v[64:65], v[16:17], -v[14:15]
	v_mul_f64 v[14:15], v[70:71], v[22:23]
	v_mul_f64 v[2:3], v[60:61], v[2:3]
	v_fma_f64 v[16:17], v[66:67], v[16:17], v[18:19]
	v_mul_f64 v[18:19], v[68:69], v[22:23]
	v_fma_f64 v[56:57], v[60:61], v[0:1], -v[56:57]
	v_mul_f64 v[22:23], v[100:101], v[26:27]
	v_mul_f64 v[26:27], v[98:99], v[26:27]
	v_fma_f64 v[60:61], v[68:69], v[20:21], -v[14:15]
	v_fma_f64 v[58:59], v[62:63], v[0:1], v[2:3]
	v_mul_f64 v[0:1], v[108:109], v[30:31]
	v_mul_f64 v[2:3], v[106:107], v[30:31]
	v_fma_f64 v[20:21], v[70:71], v[20:21], v[18:19]
	v_fma_f64 v[62:63], v[98:99], v[24:25], -v[22:23]
	v_fma_f64 v[30:31], v[100:101], v[24:25], v[26:27]
	v_add_f64 v[24:25], v[10:11], -v[16:17]
	v_add_f64 v[26:27], v[56:57], v[60:61]
	v_fma_f64 v[64:65], v[108:109], v[28:29], v[2:3]
	v_mul_f64 v[14:15], v[104:105], v[34:35]
	v_mul_f64 v[18:19], v[102:103], v[34:35]
	v_fma_f64 v[34:35], v[106:107], v[28:29], -v[0:1]
	v_mul_f64 v[0:1], v[112:113], v[38:39]
	v_mul_f64 v[2:3], v[110:111], v[38:39]
	v_add_f64 v[38:39], v[76:77], v[62:63]
	v_fma_f64 v[66:67], v[102:103], v[32:33], -v[14:15]
	v_fma_f64 v[68:69], v[110:111], v[36:37], -v[0:1]
	v_fma_f64 v[70:71], v[112:113], v[36:37], v[2:3]
	v_add_f64 v[36:37], v[56:57], -v[60:61]
	v_mul_f64 v[14:15], v[122:123], v[42:43]
	v_mul_f64 v[22:23], v[124:125], v[42:43]
	v_fma_f64 v[42:43], v[104:105], v[32:33], v[18:19]
	v_mul_f64 v[18:19], v[132:133], v[46:47]
	v_mul_f64 v[0:1], v[130:131], v[46:47]
	v_add_f64 v[46:47], v[78:79], v[30:31]
	v_fma_f64 v[100:101], v[124:125], v[40:41], v[14:15]
	v_fma_f64 v[98:99], v[122:123], v[40:41], -v[22:23]
	v_fma_f64 v[102:103], v[130:131], v[44:45], -v[18:19]
	v_add_f64 v[18:19], v[6:7], v[12:13]
	v_mul_f64 v[14:15], v[126:127], v[50:51]
	v_mul_f64 v[2:3], v[128:129], v[50:51]
	v_fma_f64 v[104:105], v[132:133], v[44:45], v[0:1]
	v_add_f64 v[44:45], v[30:31], -v[64:65]
	v_mul_f64 v[22:23], v[134:135], v[54:55]
	v_mul_f64 v[0:1], v[136:137], v[54:55]
	v_fma_f64 v[18:19], v[18:19], -0.5, v[80:81]
	v_fma_f64 v[108:109], v[128:129], v[48:49], v[14:15]
	v_add_f64 v[14:15], v[10:11], v[16:17]
	v_fma_f64 v[106:107], v[126:127], v[48:49], -v[2:3]
	v_add_f64 v[2:3], v[80:81], v[6:7]
	v_add_f64 v[6:7], v[6:7], -v[12:13]
	v_fma_f64 v[110:111], v[136:137], v[52:53], v[22:23]
	v_add_f64 v[22:23], v[82:83], v[10:11]
	v_fma_f64 v[80:81], v[134:135], v[52:53], -v[0:1]
	v_fma_f64 v[10:11], v[24:25], s[4:5], v[18:19]
	v_fma_f64 v[28:29], v[14:15], -0.5, v[82:83]
	v_fma_f64 v[14:15], v[24:25], s[6:7], v[18:19]
	v_add_f64 v[0:1], v[2:3], v[12:13]
	v_fma_f64 v[24:25], v[26:27], -0.5, v[72:73]
	v_add_f64 v[26:27], v[58:59], -v[20:21]
	v_add_f64 v[2:3], v[22:23], v[16:17]
	v_add_f64 v[22:23], v[58:59], v[20:21]
	;; [unrolled: 1-line block ×3, first 2 shown]
	v_fma_f64 v[12:13], v[6:7], s[6:7], v[28:29]
	v_fma_f64 v[16:17], v[6:7], s[4:5], v[28:29]
	v_add_f64 v[6:7], v[74:75], v[58:59]
	v_add_f64 v[28:29], v[62:63], v[34:35]
	v_add_f64 v[48:49], v[62:63], -v[34:35]
	v_add_f64 v[52:53], v[42:43], -v[70:71]
	v_fma_f64 v[32:33], v[22:23], -0.5, v[74:75]
	v_fma_f64 v[22:23], v[26:27], s[4:5], v[24:25]
	v_fma_f64 v[26:27], v[26:27], s[6:7], v[24:25]
	v_add_f64 v[18:19], v[18:19], v[60:61]
	v_add_f64 v[20:21], v[6:7], v[20:21]
	;; [unrolled: 1-line block ×3, first 2 shown]
	v_fma_f64 v[40:41], v[28:29], -0.5, v[76:77]
	v_add_f64 v[30:31], v[38:39], v[34:35]
	v_fma_f64 v[24:25], v[36:37], s[6:7], v[32:33]
	v_fma_f64 v[28:29], v[36:37], s[4:5], v[32:33]
	v_add_f64 v[36:37], v[66:67], v[68:69]
	v_add_f64 v[32:33], v[46:47], v[64:65]
	;; [unrolled: 1-line block ×3, first 2 shown]
	v_fma_f64 v[6:7], v[6:7], -0.5, v[78:79]
	v_fma_f64 v[34:35], v[44:45], s[4:5], v[40:41]
	v_fma_f64 v[38:39], v[44:45], s[6:7], v[40:41]
	v_add_f64 v[44:45], v[42:43], v[70:71]
	v_add_f64 v[54:55], v[98:99], v[102:103]
	v_fma_f64 v[50:51], v[36:37], -0.5, v[84:85]
	v_add_f64 v[58:59], v[66:67], -v[68:69]
	v_add_f64 v[60:61], v[114:115], v[98:99]
	v_fma_f64 v[36:37], v[48:49], s[6:7], v[6:7]
	v_fma_f64 v[40:41], v[48:49], s[4:5], v[6:7]
	v_add_f64 v[6:7], v[86:87], v[42:43]
	v_fma_f64 v[56:57], v[44:45], -0.5, v[86:87]
	v_add_f64 v[42:43], v[46:47], v[68:69]
	v_fma_f64 v[46:47], v[52:53], s[4:5], v[50:51]
	v_fma_f64 v[62:63], v[54:55], -0.5, v[114:115]
	v_add_f64 v[64:65], v[100:101], -v[104:105]
	v_fma_f64 v[50:51], v[52:53], s[6:7], v[50:51]
	v_add_f64 v[54:55], v[60:61], v[102:103]
	v_add_f64 v[44:45], v[6:7], v[70:71]
	v_fma_f64 v[48:49], v[58:59], s[6:7], v[56:57]
	v_add_f64 v[6:7], v[100:101], v[104:105]
	v_fma_f64 v[52:53], v[58:59], s[4:5], v[56:57]
	v_add_f64 v[56:57], v[106:107], v[80:81]
	v_add_f64 v[60:61], v[108:109], v[110:111]
	v_fma_f64 v[58:59], v[64:65], s[4:5], v[62:63]
	v_fma_f64 v[62:63], v[64:65], s[6:7], v[62:63]
	v_add_f64 v[64:65], v[116:117], v[100:101]
	v_add_f64 v[66:67], v[98:99], -v[102:103]
	v_fma_f64 v[6:7], v[6:7], -0.5, v[116:117]
	v_add_f64 v[68:69], v[118:119], v[106:107]
	v_fma_f64 v[72:73], v[56:57], -0.5, v[118:119]
	v_add_f64 v[74:75], v[108:109], -v[110:111]
	v_add_f64 v[76:77], v[120:121], v[108:109]
	v_fma_f64 v[78:79], v[60:61], -0.5, v[120:121]
	v_add_f64 v[82:83], v[106:107], -v[80:81]
	v_add_f64 v[56:57], v[64:65], v[104:105]
	v_fma_f64 v[60:61], v[66:67], s[6:7], v[6:7]
	v_fma_f64 v[64:65], v[66:67], s[4:5], v[6:7]
	v_add_f64 v[66:67], v[68:69], v[80:81]
	v_fma_f64 v[70:71], v[74:75], s[4:5], v[72:73]
	v_fma_f64 v[74:75], v[74:75], s[6:7], v[72:73]
	;; [unrolled: 3-line block ×3, first 2 shown]
	ds_write_b128 v95, v[0:3]
	ds_write_b128 v95, v[10:13] offset:6336
	ds_write_b128 v95, v[14:17] offset:12672
	ds_write_b128 v4, v[18:21]
	ds_write_b128 v4, v[22:25] offset:6336
	ds_write_b128 v4, v[26:29] offset:12672
	;; [unrolled: 3-line block ×3, first 2 shown]
	ds_write_b128 v95, v[42:45] offset:3168
	ds_write_b128 v95, v[46:49] offset:9504
	;; [unrolled: 1-line block ×9, first 2 shown]
	s_waitcnt lgkmcnt(0)
	s_barrier
	ds_read_b128 v[4:7], v96
	s_add_u32 s6, s8, 0x49e0
	s_addc_u32 s7, s9, 0
	v_sub_u32_e32 v14, v97, v93
                                        ; implicit-def: $vgpr0_vgpr1
                                        ; implicit-def: $vgpr10_vgpr11
                                        ; implicit-def: $vgpr12_vgpr13
	s_and_saveexec_b64 s[4:5], vcc
	s_xor_b64 s[4:5], exec, s[4:5]
	s_cbranch_execz .LBB0_18
; %bb.17:
	v_mov_b32_e32 v1, s7
	v_add_co_u32_e32 v0, vcc, s6, v8
	v_addc_co_u32_e32 v1, vcc, v1, v9, vcc
	global_load_dwordx4 v[15:18], v[0:1], off
	ds_read_b128 v[0:3], v14 offset:19008
	s_waitcnt lgkmcnt(0)
	v_add_f64 v[10:11], v[4:5], -v[0:1]
	v_add_f64 v[12:13], v[6:7], v[2:3]
	v_add_f64 v[2:3], v[6:7], -v[2:3]
	v_add_f64 v[0:1], v[4:5], v[0:1]
	v_mul_f64 v[6:7], v[10:11], 0.5
	v_mul_f64 v[4:5], v[12:13], 0.5
	;; [unrolled: 1-line block ×3, first 2 shown]
	s_waitcnt vmcnt(0)
	v_mul_f64 v[10:11], v[6:7], v[17:18]
	v_fma_f64 v[12:13], v[4:5], v[17:18], v[2:3]
	v_fma_f64 v[2:3], v[4:5], v[17:18], -v[2:3]
	v_fma_f64 v[19:20], v[0:1], 0.5, v[10:11]
	v_fma_f64 v[0:1], v[0:1], 0.5, -v[10:11]
	v_fma_f64 v[12:13], -v[15:16], v[6:7], v[12:13]
	v_fma_f64 v[2:3], -v[15:16], v[6:7], v[2:3]
	v_fma_f64 v[10:11], v[4:5], v[15:16], v[19:20]
	v_fma_f64 v[0:1], -v[4:5], v[15:16], v[0:1]
                                        ; implicit-def: $vgpr4_vgpr5
.LBB0_18:
	s_andn2_saveexec_b64 s[4:5], s[4:5]
	s_cbranch_execz .LBB0_20
; %bb.19:
	s_waitcnt lgkmcnt(0)
	v_add_f64 v[10:11], v[4:5], v[6:7]
	ds_read_b64 v[2:3], v97 offset:9512
	v_add_f64 v[0:1], v[4:5], -v[6:7]
	v_mov_b32_e32 v12, 0
	v_mov_b32_e32 v13, 0
	s_waitcnt lgkmcnt(0)
	v_xor_b32_e32 v3, 0x80000000, v3
	ds_write_b64 v97, v[2:3] offset:9512
	v_mov_b32_e32 v2, v12
	v_mov_b32_e32 v3, v13
.LBB0_20:
	s_or_b64 exec, exec, s[4:5]
	v_mov_b32_e32 v95, 0
	s_waitcnt lgkmcnt(0)
	v_lshlrev_b64 v[4:5], 4, v[94:95]
	v_mov_b32_e32 v6, s7
	v_add_co_u32_e32 v4, vcc, s6, v4
	v_addc_co_u32_e32 v5, vcc, v6, v5, vcc
	global_load_dwordx4 v[4:7], v[4:5], off
	v_mov_b32_e32 v93, v95
	v_lshlrev_b64 v[15:16], 4, v[92:93]
	v_mov_b32_e32 v17, s7
	v_add_co_u32_e32 v15, vcc, s6, v15
	v_addc_co_u32_e32 v16, vcc, v17, v16, vcc
	global_load_dwordx4 v[15:18], v[15:16], off
	ds_write2_b64 v96, v[10:11], v[12:13] offset1:1
	ds_write_b128 v14, v[0:3] offset:19008
	v_lshl_add_u32 v27, v94, 4, v97
	ds_read_b128 v[0:3], v27
	ds_read_b128 v[10:13], v14 offset:17952
	v_mov_b32_e32 v26, s7
	v_add_co_u32_e32 v25, vcc, s6, v8
	v_addc_co_u32_e32 v26, vcc, v26, v9, vcc
	s_waitcnt lgkmcnt(0)
	v_add_f64 v[19:20], v[0:1], -v[10:11]
	v_add_f64 v[21:22], v[2:3], v[12:13]
	v_add_f64 v[2:3], v[2:3], -v[12:13]
	v_add_f64 v[0:1], v[0:1], v[10:11]
	v_lshl_add_u32 v29, v92, 4, v97
	s_movk_i32 s4, 0x1000
	s_movk_i32 s5, 0x2000
	v_mul_f64 v[12:13], v[19:20], 0.5
	v_mul_f64 v[19:20], v[21:22], 0.5
	;; [unrolled: 1-line block ×3, first 2 shown]
	s_waitcnt vmcnt(1)
	v_mul_f64 v[10:11], v[12:13], v[6:7]
	v_fma_f64 v[21:22], v[19:20], v[6:7], v[2:3]
	v_fma_f64 v[6:7], v[19:20], v[6:7], -v[2:3]
	v_fma_f64 v[23:24], v[0:1], 0.5, v[10:11]
	v_fma_f64 v[10:11], v[0:1], 0.5, -v[10:11]
	global_load_dwordx4 v[0:3], v[25:26], off offset:3168
	v_fma_f64 v[21:22], -v[4:5], v[12:13], v[21:22]
	v_fma_f64 v[6:7], -v[4:5], v[12:13], v[6:7]
	v_fma_f64 v[12:13], v[19:20], v[4:5], v[23:24]
	v_fma_f64 v[4:5], -v[19:20], v[4:5], v[10:11]
	ds_write2_b64 v27, v[12:13], v[21:22] offset1:1
	ds_write_b128 v14, v[4:7] offset:17952
	ds_read_b128 v[4:7], v29
	ds_read_b128 v[10:13], v14 offset:16896
	v_add_co_u32_e32 v27, vcc, s4, v25
	v_addc_co_u32_e32 v28, vcc, 0, v26, vcc
	s_waitcnt lgkmcnt(0)
	v_add_f64 v[19:20], v[4:5], -v[10:11]
	v_add_f64 v[21:22], v[6:7], v[12:13]
	v_add_f64 v[6:7], v[6:7], -v[12:13]
	v_add_f64 v[4:5], v[4:5], v[10:11]
	v_mul_f64 v[12:13], v[19:20], 0.5
	v_mul_f64 v[19:20], v[21:22], 0.5
	;; [unrolled: 1-line block ×3, first 2 shown]
	s_waitcnt vmcnt(1)
	v_mul_f64 v[10:11], v[12:13], v[17:18]
	v_fma_f64 v[21:22], v[19:20], v[17:18], v[6:7]
	v_fma_f64 v[17:18], v[19:20], v[17:18], -v[6:7]
	v_fma_f64 v[23:24], v[4:5], 0.5, v[10:11]
	v_fma_f64 v[10:11], v[4:5], 0.5, -v[10:11]
	global_load_dwordx4 v[4:7], v[27:28], off offset:128
	v_fma_f64 v[21:22], -v[15:16], v[12:13], v[21:22]
	v_fma_f64 v[12:13], -v[15:16], v[12:13], v[17:18]
	v_fma_f64 v[17:18], v[19:20], v[15:16], v[23:24]
	v_fma_f64 v[10:11], -v[19:20], v[15:16], v[10:11]
	ds_write2_b64 v29, v[17:18], v[21:22] offset1:1
	ds_write_b128 v14, v[10:13] offset:16896
	ds_read_b128 v[10:13], v96 offset:3168
	ds_read_b128 v[15:18], v14 offset:15840
	v_add_u32_e32 v29, 0x1000, v96
	s_waitcnt lgkmcnt(0)
	v_add_f64 v[19:20], v[10:11], -v[15:16]
	v_add_f64 v[21:22], v[12:13], v[17:18]
	v_add_f64 v[12:13], v[12:13], -v[17:18]
	v_add_f64 v[10:11], v[10:11], v[15:16]
	v_mul_f64 v[17:18], v[19:20], 0.5
	v_mul_f64 v[19:20], v[21:22], 0.5
	;; [unrolled: 1-line block ×3, first 2 shown]
	s_waitcnt vmcnt(1)
	v_mul_f64 v[15:16], v[17:18], v[2:3]
	v_fma_f64 v[21:22], v[19:20], v[2:3], v[12:13]
	v_fma_f64 v[2:3], v[19:20], v[2:3], -v[12:13]
	v_fma_f64 v[23:24], v[10:11], 0.5, v[15:16]
	v_fma_f64 v[15:16], v[10:11], 0.5, -v[15:16]
	global_load_dwordx4 v[10:13], v[27:28], off offset:1184
	v_fma_f64 v[21:22], -v[0:1], v[17:18], v[21:22]
	v_fma_f64 v[2:3], -v[0:1], v[17:18], v[2:3]
	v_fma_f64 v[17:18], v[19:20], v[0:1], v[23:24]
	v_fma_f64 v[0:1], -v[19:20], v[0:1], v[15:16]
	v_add_u32_e32 v15, 0x800, v96
	ds_write2_b64 v15, v[17:18], v[21:22] offset0:140 offset1:141
	ds_write_b128 v14, v[0:3] offset:15840
	ds_read_b128 v[0:3], v96 offset:4224
	ds_read_b128 v[15:18], v14 offset:14784
	s_waitcnt lgkmcnt(0)
	v_add_f64 v[19:20], v[0:1], -v[15:16]
	v_add_f64 v[21:22], v[2:3], v[17:18]
	v_add_f64 v[2:3], v[2:3], -v[17:18]
	v_add_f64 v[0:1], v[0:1], v[15:16]
	v_mul_f64 v[17:18], v[19:20], 0.5
	v_mul_f64 v[19:20], v[21:22], 0.5
	;; [unrolled: 1-line block ×3, first 2 shown]
	s_waitcnt vmcnt(1)
	v_mul_f64 v[15:16], v[17:18], v[6:7]
	v_fma_f64 v[21:22], v[19:20], v[6:7], v[2:3]
	v_fma_f64 v[6:7], v[19:20], v[6:7], -v[2:3]
	v_fma_f64 v[23:24], v[0:1], 0.5, v[15:16]
	v_fma_f64 v[15:16], v[0:1], 0.5, -v[15:16]
	global_load_dwordx4 v[0:3], v[27:28], off offset:2240
	v_fma_f64 v[21:22], -v[4:5], v[17:18], v[21:22]
	v_fma_f64 v[6:7], -v[4:5], v[17:18], v[6:7]
	v_fma_f64 v[17:18], v[19:20], v[4:5], v[23:24]
	v_fma_f64 v[4:5], -v[19:20], v[4:5], v[15:16]
	ds_write2_b64 v29, v[17:18], v[21:22] offset0:16 offset1:17
	ds_write_b128 v14, v[4:7] offset:14784
	ds_read_b128 v[4:7], v96 offset:5280
	ds_read_b128 v[15:18], v14 offset:13728
	s_waitcnt lgkmcnt(0)
	v_add_f64 v[19:20], v[4:5], -v[15:16]
	v_add_f64 v[21:22], v[6:7], v[17:18]
	v_add_f64 v[6:7], v[6:7], -v[17:18]
	v_add_f64 v[4:5], v[4:5], v[15:16]
	v_mul_f64 v[17:18], v[19:20], 0.5
	v_mul_f64 v[19:20], v[21:22], 0.5
	v_mul_f64 v[6:7], v[6:7], 0.5
	s_waitcnt vmcnt(1)
	v_mul_f64 v[15:16], v[17:18], v[12:13]
	v_fma_f64 v[21:22], v[19:20], v[12:13], v[6:7]
	v_fma_f64 v[12:13], v[19:20], v[12:13], -v[6:7]
	v_fma_f64 v[23:24], v[4:5], 0.5, v[15:16]
	v_fma_f64 v[15:16], v[4:5], 0.5, -v[15:16]
	global_load_dwordx4 v[4:7], v[27:28], off offset:3296
	v_fma_f64 v[21:22], -v[10:11], v[17:18], v[21:22]
	v_fma_f64 v[12:13], -v[10:11], v[17:18], v[12:13]
	v_fma_f64 v[17:18], v[19:20], v[10:11], v[23:24]
	v_fma_f64 v[10:11], -v[19:20], v[10:11], v[15:16]
	ds_write2_b64 v29, v[17:18], v[21:22] offset0:148 offset1:149
	ds_write_b128 v14, v[10:13] offset:13728
	ds_read_b128 v[10:13], v96 offset:6336
	ds_read_b128 v[15:18], v14 offset:12672
	s_waitcnt lgkmcnt(0)
	v_add_f64 v[19:20], v[10:11], -v[15:16]
	v_add_f64 v[21:22], v[12:13], v[17:18]
	v_add_f64 v[12:13], v[12:13], -v[17:18]
	v_add_f64 v[10:11], v[10:11], v[15:16]
	v_mul_f64 v[17:18], v[19:20], 0.5
	v_mul_f64 v[19:20], v[21:22], 0.5
	v_mul_f64 v[12:13], v[12:13], 0.5
	s_waitcnt vmcnt(1)
	v_mul_f64 v[15:16], v[17:18], v[2:3]
	v_fma_f64 v[21:22], v[19:20], v[2:3], v[12:13]
	v_fma_f64 v[2:3], v[19:20], v[2:3], -v[12:13]
	v_fma_f64 v[23:24], v[10:11], 0.5, v[15:16]
	v_fma_f64 v[15:16], v[10:11], 0.5, -v[15:16]
	v_add_co_u32_e32 v10, vcc, s5, v25
	v_addc_co_u32_e32 v11, vcc, 0, v26, vcc
	global_load_dwordx4 v[10:13], v[10:11], off offset:256
	v_fma_f64 v[21:22], -v[0:1], v[17:18], v[21:22]
	v_fma_f64 v[2:3], -v[0:1], v[17:18], v[2:3]
	v_fma_f64 v[17:18], v[19:20], v[0:1], v[23:24]
	v_fma_f64 v[0:1], -v[19:20], v[0:1], v[15:16]
	v_add_u32_e32 v23, 0x1800, v96
	ds_write2_b64 v23, v[17:18], v[21:22] offset0:24 offset1:25
	ds_write_b128 v14, v[0:3] offset:12672
	ds_read_b128 v[0:3], v96 offset:7392
	ds_read_b128 v[15:18], v14 offset:11616
	s_waitcnt lgkmcnt(0)
	v_add_f64 v[19:20], v[0:1], -v[15:16]
	v_add_f64 v[21:22], v[2:3], v[17:18]
	v_add_f64 v[2:3], v[2:3], -v[17:18]
	v_add_f64 v[0:1], v[0:1], v[15:16]
	v_mul_f64 v[17:18], v[19:20], 0.5
	v_mul_f64 v[19:20], v[21:22], 0.5
	;; [unrolled: 1-line block ×3, first 2 shown]
	s_waitcnt vmcnt(1)
	v_mul_f64 v[15:16], v[17:18], v[6:7]
	v_fma_f64 v[21:22], v[19:20], v[6:7], v[2:3]
	v_fma_f64 v[2:3], v[19:20], v[6:7], -v[2:3]
	v_fma_f64 v[6:7], v[0:1], 0.5, v[15:16]
	v_fma_f64 v[0:1], v[0:1], 0.5, -v[15:16]
	v_fma_f64 v[15:16], -v[4:5], v[17:18], v[21:22]
	v_fma_f64 v[2:3], -v[4:5], v[17:18], v[2:3]
	v_fma_f64 v[6:7], v[19:20], v[4:5], v[6:7]
	v_fma_f64 v[0:1], -v[19:20], v[4:5], v[0:1]
	ds_write2_b64 v23, v[6:7], v[15:16] offset0:156 offset1:157
	ds_write_b128 v14, v[0:3] offset:11616
	ds_read_b128 v[0:3], v96 offset:8448
	ds_read_b128 v[4:7], v14 offset:10560
	s_waitcnt lgkmcnt(0)
	v_add_f64 v[15:16], v[0:1], -v[4:5]
	v_add_f64 v[17:18], v[2:3], v[6:7]
	v_add_f64 v[2:3], v[2:3], -v[6:7]
	v_add_f64 v[0:1], v[0:1], v[4:5]
	v_mul_f64 v[6:7], v[15:16], 0.5
	v_mul_f64 v[15:16], v[17:18], 0.5
	;; [unrolled: 1-line block ×3, first 2 shown]
	s_waitcnt vmcnt(0)
	v_mul_f64 v[4:5], v[6:7], v[12:13]
	v_fma_f64 v[17:18], v[15:16], v[12:13], v[2:3]
	v_fma_f64 v[2:3], v[15:16], v[12:13], -v[2:3]
	v_fma_f64 v[12:13], v[0:1], 0.5, v[4:5]
	v_fma_f64 v[0:1], v[0:1], 0.5, -v[4:5]
	v_fma_f64 v[4:5], -v[10:11], v[6:7], v[17:18]
	v_fma_f64 v[2:3], -v[10:11], v[6:7], v[2:3]
	v_fma_f64 v[6:7], v[15:16], v[10:11], v[12:13]
	v_fma_f64 v[0:1], -v[15:16], v[10:11], v[0:1]
	v_add_u32_e32 v10, 0x2000, v96
	ds_write2_b64 v10, v[6:7], v[4:5] offset0:32 offset1:33
	ds_write_b128 v14, v[0:3] offset:10560
	s_waitcnt lgkmcnt(0)
	s_barrier
	s_and_saveexec_b64 s[6:7], s[0:1]
	s_cbranch_execz .LBB0_23
; %bb.21:
	ds_read_b128 v[2:5], v96
	ds_read_b128 v[10:13], v96 offset:1056
	ds_read_b128 v[14:17], v96 offset:2112
	;; [unrolled: 1-line block ×3, first 2 shown]
	v_mov_b32_e32 v0, s3
	v_add_co_u32_e32 v1, vcc, s2, v90
	v_addc_co_u32_e32 v0, vcc, v0, v91, vcc
	v_add_co_u32_e32 v22, vcc, v1, v8
	v_addc_co_u32_e32 v23, vcc, v0, v9, vcc
	s_waitcnt lgkmcnt(3)
	global_store_dwordx4 v[22:23], v[2:5], off
	s_waitcnt lgkmcnt(2)
	global_store_dwordx4 v[22:23], v[10:13], off offset:1056
	s_waitcnt lgkmcnt(1)
	global_store_dwordx4 v[22:23], v[14:17], off offset:2112
	;; [unrolled: 2-line block ×3, first 2 shown]
	ds_read_b128 v[2:5], v96 offset:4224
	ds_read_b128 v[6:9], v96 offset:5280
	;; [unrolled: 1-line block ×4, first 2 shown]
	v_add_co_u32_e32 v18, vcc, s4, v22
	v_addc_co_u32_e32 v19, vcc, 0, v23, vcc
	s_waitcnt lgkmcnt(3)
	global_store_dwordx4 v[18:19], v[2:5], off offset:128
	s_waitcnt lgkmcnt(2)
	global_store_dwordx4 v[18:19], v[6:9], off offset:1184
	;; [unrolled: 2-line block ×4, first 2 shown]
	ds_read_b128 v[2:5], v96 offset:8448
	ds_read_b128 v[6:9], v96 offset:9504
	;; [unrolled: 1-line block ×4, first 2 shown]
	v_add_co_u32_e32 v18, vcc, s5, v22
	v_addc_co_u32_e32 v19, vcc, 0, v23, vcc
	s_waitcnt lgkmcnt(3)
	global_store_dwordx4 v[18:19], v[2:5], off offset:256
	s_waitcnt lgkmcnt(2)
	global_store_dwordx4 v[18:19], v[6:9], off offset:1312
	s_waitcnt lgkmcnt(1)
	global_store_dwordx4 v[18:19], v[10:13], off offset:2368
	s_waitcnt lgkmcnt(0)
	global_store_dwordx4 v[18:19], v[14:17], off offset:3424
	ds_read_b128 v[2:5], v96 offset:12672
	ds_read_b128 v[6:9], v96 offset:13728
	;; [unrolled: 1-line block ×4, first 2 shown]
	s_movk_i32 s0, 0x3000
	v_add_co_u32_e32 v18, vcc, s0, v22
	v_addc_co_u32_e32 v19, vcc, 0, v23, vcc
	s_waitcnt lgkmcnt(3)
	global_store_dwordx4 v[18:19], v[2:5], off offset:384
	s_waitcnt lgkmcnt(2)
	global_store_dwordx4 v[18:19], v[6:9], off offset:1440
	;; [unrolled: 2-line block ×4, first 2 shown]
	ds_read_b128 v[2:5], v96 offset:16896
	ds_read_b128 v[6:9], v96 offset:17952
	v_add_co_u32_e32 v10, vcc, 0x4000, v22
	v_addc_co_u32_e32 v11, vcc, 0, v23, vcc
	s_movk_i32 s0, 0x41
	v_cmp_eq_u32_e32 vcc, s0, v88
	s_waitcnt lgkmcnt(1)
	global_store_dwordx4 v[10:11], v[2:5], off offset:512
	s_waitcnt lgkmcnt(0)
	global_store_dwordx4 v[10:11], v[6:9], off offset:1568
	s_and_b64 exec, exec, vcc
	s_cbranch_execz .LBB0_23
; %bb.22:
	ds_read_b128 v[2:5], v96 offset:17968
	v_add_co_u32_e32 v6, vcc, 0x4000, v1
	v_addc_co_u32_e32 v7, vcc, 0, v0, vcc
	s_waitcnt lgkmcnt(0)
	global_store_dwordx4 v[6:7], v[2:5], off offset:2624
.LBB0_23:
	s_endpgm
	.section	.rodata,"a",@progbits
	.p2align	6, 0x0
	.amdhsa_kernel fft_rtc_fwd_len1188_factors_6_11_2_3_3_wgs_198_tpt_66_halfLds_dp_ip_CI_unitstride_sbrr_R2C_dirReg
		.amdhsa_group_segment_fixed_size 0
		.amdhsa_private_segment_fixed_size 0
		.amdhsa_kernarg_size 88
		.amdhsa_user_sgpr_count 6
		.amdhsa_user_sgpr_private_segment_buffer 1
		.amdhsa_user_sgpr_dispatch_ptr 0
		.amdhsa_user_sgpr_queue_ptr 0
		.amdhsa_user_sgpr_kernarg_segment_ptr 1
		.amdhsa_user_sgpr_dispatch_id 0
		.amdhsa_user_sgpr_flat_scratch_init 0
		.amdhsa_user_sgpr_private_segment_size 0
		.amdhsa_uses_dynamic_stack 0
		.amdhsa_system_sgpr_private_segment_wavefront_offset 0
		.amdhsa_system_sgpr_workgroup_id_x 1
		.amdhsa_system_sgpr_workgroup_id_y 0
		.amdhsa_system_sgpr_workgroup_id_z 0
		.amdhsa_system_sgpr_workgroup_info 0
		.amdhsa_system_vgpr_workitem_id 0
		.amdhsa_next_free_vgpr 178
		.amdhsa_next_free_sgpr 41
		.amdhsa_reserve_vcc 1
		.amdhsa_reserve_flat_scratch 0
		.amdhsa_float_round_mode_32 0
		.amdhsa_float_round_mode_16_64 0
		.amdhsa_float_denorm_mode_32 3
		.amdhsa_float_denorm_mode_16_64 3
		.amdhsa_dx10_clamp 1
		.amdhsa_ieee_mode 1
		.amdhsa_fp16_overflow 0
		.amdhsa_exception_fp_ieee_invalid_op 0
		.amdhsa_exception_fp_denorm_src 0
		.amdhsa_exception_fp_ieee_div_zero 0
		.amdhsa_exception_fp_ieee_overflow 0
		.amdhsa_exception_fp_ieee_underflow 0
		.amdhsa_exception_fp_ieee_inexact 0
		.amdhsa_exception_int_div_zero 0
	.end_amdhsa_kernel
	.text
.Lfunc_end0:
	.size	fft_rtc_fwd_len1188_factors_6_11_2_3_3_wgs_198_tpt_66_halfLds_dp_ip_CI_unitstride_sbrr_R2C_dirReg, .Lfunc_end0-fft_rtc_fwd_len1188_factors_6_11_2_3_3_wgs_198_tpt_66_halfLds_dp_ip_CI_unitstride_sbrr_R2C_dirReg
                                        ; -- End function
	.section	.AMDGPU.csdata,"",@progbits
; Kernel info:
; codeLenInByte = 16344
; NumSgprs: 45
; NumVgprs: 178
; ScratchSize: 0
; MemoryBound: 0
; FloatMode: 240
; IeeeMode: 1
; LDSByteSize: 0 bytes/workgroup (compile time only)
; SGPRBlocks: 5
; VGPRBlocks: 44
; NumSGPRsForWavesPerEU: 45
; NumVGPRsForWavesPerEU: 178
; Occupancy: 1
; WaveLimiterHint : 1
; COMPUTE_PGM_RSRC2:SCRATCH_EN: 0
; COMPUTE_PGM_RSRC2:USER_SGPR: 6
; COMPUTE_PGM_RSRC2:TRAP_HANDLER: 0
; COMPUTE_PGM_RSRC2:TGID_X_EN: 1
; COMPUTE_PGM_RSRC2:TGID_Y_EN: 0
; COMPUTE_PGM_RSRC2:TGID_Z_EN: 0
; COMPUTE_PGM_RSRC2:TIDIG_COMP_CNT: 0
	.type	__hip_cuid_908e56a64d7a89b5,@object ; @__hip_cuid_908e56a64d7a89b5
	.section	.bss,"aw",@nobits
	.globl	__hip_cuid_908e56a64d7a89b5
__hip_cuid_908e56a64d7a89b5:
	.byte	0                               ; 0x0
	.size	__hip_cuid_908e56a64d7a89b5, 1

	.ident	"AMD clang version 19.0.0git (https://github.com/RadeonOpenCompute/llvm-project roc-6.4.0 25133 c7fe45cf4b819c5991fe208aaa96edf142730f1d)"
	.section	".note.GNU-stack","",@progbits
	.addrsig
	.addrsig_sym __hip_cuid_908e56a64d7a89b5
	.amdgpu_metadata
---
amdhsa.kernels:
  - .args:
      - .actual_access:  read_only
        .address_space:  global
        .offset:         0
        .size:           8
        .value_kind:     global_buffer
      - .offset:         8
        .size:           8
        .value_kind:     by_value
      - .actual_access:  read_only
        .address_space:  global
        .offset:         16
        .size:           8
        .value_kind:     global_buffer
      - .actual_access:  read_only
        .address_space:  global
        .offset:         24
        .size:           8
        .value_kind:     global_buffer
      - .offset:         32
        .size:           8
        .value_kind:     by_value
      - .actual_access:  read_only
        .address_space:  global
        .offset:         40
        .size:           8
        .value_kind:     global_buffer
      - .actual_access:  read_only
        .address_space:  global
        .offset:         48
        .size:           8
        .value_kind:     global_buffer
      - .offset:         56
        .size:           4
        .value_kind:     by_value
      - .actual_access:  read_only
        .address_space:  global
        .offset:         64
        .size:           8
        .value_kind:     global_buffer
      - .actual_access:  read_only
        .address_space:  global
        .offset:         72
        .size:           8
        .value_kind:     global_buffer
      - .address_space:  global
        .offset:         80
        .size:           8
        .value_kind:     global_buffer
    .group_segment_fixed_size: 0
    .kernarg_segment_align: 8
    .kernarg_segment_size: 88
    .language:       OpenCL C
    .language_version:
      - 2
      - 0
    .max_flat_workgroup_size: 198
    .name:           fft_rtc_fwd_len1188_factors_6_11_2_3_3_wgs_198_tpt_66_halfLds_dp_ip_CI_unitstride_sbrr_R2C_dirReg
    .private_segment_fixed_size: 0
    .sgpr_count:     45
    .sgpr_spill_count: 0
    .symbol:         fft_rtc_fwd_len1188_factors_6_11_2_3_3_wgs_198_tpt_66_halfLds_dp_ip_CI_unitstride_sbrr_R2C_dirReg.kd
    .uniform_work_group_size: 1
    .uses_dynamic_stack: false
    .vgpr_count:     178
    .vgpr_spill_count: 0
    .wavefront_size: 64
amdhsa.target:   amdgcn-amd-amdhsa--gfx906
amdhsa.version:
  - 1
  - 2
...

	.end_amdgpu_metadata
